;; amdgpu-corpus repo=ROCm/rocFFT kind=compiled arch=gfx1201 opt=O3
	.text
	.amdgcn_target "amdgcn-amd-amdhsa--gfx1201"
	.amdhsa_code_object_version 6
	.protected	bluestein_single_fwd_len1224_dim1_sp_op_CI_CI ; -- Begin function bluestein_single_fwd_len1224_dim1_sp_op_CI_CI
	.globl	bluestein_single_fwd_len1224_dim1_sp_op_CI_CI
	.p2align	8
	.type	bluestein_single_fwd_len1224_dim1_sp_op_CI_CI,@function
bluestein_single_fwd_len1224_dim1_sp_op_CI_CI: ; @bluestein_single_fwd_len1224_dim1_sp_op_CI_CI
; %bb.0:
	s_load_b128 s[4:7], s[0:1], 0x28
	v_mul_u32_u24_e32 v1, 0x283, v0
	v_mov_b32_e32 v73, 0
	s_mov_b32 s2, exec_lo
	s_delay_alu instid0(VALU_DEP_2) | instskip(NEXT) | instid1(VALU_DEP_1)
	v_lshrrev_b32_e32 v1, 16, v1
	v_lshl_add_u32 v72, ttmp9, 1, v1
	s_wait_kmcnt 0x0
	s_delay_alu instid0(VALU_DEP_1)
	v_cmpx_gt_u64_e64 s[4:5], v[72:73]
	s_cbranch_execz .LBB0_15
; %bb.1:
	v_mul_lo_u16 v2, 0x66, v1
	s_clause 0x1
	s_load_b64 s[12:13], s[0:1], 0x0
	s_load_b64 s[14:15], s[0:1], 0x38
	v_and_b32_e32 v1, 1, v1
	v_sub_nc_u16 v0, v0, v2
	s_delay_alu instid0(VALU_DEP_2) | instskip(NEXT) | instid1(VALU_DEP_2)
	v_cmp_eq_u32_e32 vcc_lo, 1, v1
	v_and_b32_e32 v107, 0xffff, v0
	v_cndmask_b32_e64 v46, 0, 0x4c8, vcc_lo
	v_cmp_gt_u16_e32 vcc_lo, 0x48, v0
	s_delay_alu instid0(VALU_DEP_3) | instskip(SKIP_1) | instid1(VALU_DEP_4)
	v_lshlrev_b32_e32 v106, 3, v107
	v_or_b32_e32 v105, 0x480, v107
	v_lshlrev_b32_e32 v108, 3, v46
	s_and_saveexec_b32 s3, vcc_lo
	s_cbranch_execz .LBB0_3
; %bb.2:
	s_load_b64 s[4:5], s[0:1], 0x18
	s_delay_alu instid0(VALU_DEP_1)
	v_lshl_add_u32 v75, v107, 3, v108
	s_wait_kmcnt 0x0
	s_load_b128 s[8:11], s[4:5], 0x0
	s_clause 0x7
	global_load_b64 v[4:5], v106, s[12:13]
	global_load_b64 v[6:7], v106, s[12:13] offset:576
	global_load_b64 v[8:9], v106, s[12:13] offset:1152
	;; [unrolled: 1-line block ×7, first 2 shown]
	v_add_nc_u32_e32 v71, v108, v106
	s_delay_alu instid0(VALU_DEP_1) | instskip(SKIP_4) | instid1(VALU_DEP_1)
	v_add_nc_u32_e32 v76, 0x400, v71
	s_wait_kmcnt 0x0
	v_mad_co_u64_u32 v[0:1], null, s10, v72, 0
	v_mad_co_u64_u32 v[2:3], null, s8, v107, 0
	s_mul_u64 s[4:5], s[8:9], 0x240
	v_mad_co_u64_u32 v[20:21], null, s11, v72, v[1:2]
	v_mad_co_u64_u32 v[21:22], null, s8, v105, 0
	s_delay_alu instid0(VALU_DEP_1) | instskip(NEXT) | instid1(VALU_DEP_1)
	v_dual_mov_b32 v1, v20 :: v_dual_mov_b32 v20, v22
	v_lshlrev_b64_e32 v[0:1], 3, v[0:1]
	s_wait_loadcnt 0x7
	v_mad_co_u64_u32 v[23:24], null, s9, v107, v[3:4]
	s_clause 0x6
	global_load_b64 v[24:25], v106, s[12:13] offset:4608
	global_load_b64 v[26:27], v106, s[12:13] offset:5184
	;; [unrolled: 1-line block ×7, first 2 shown]
	v_mov_b32_e32 v3, v23
	v_mad_co_u64_u32 v[22:23], null, s9, v105, v[20:21]
	v_add_co_u32 v23, s2, s6, v0
	s_delay_alu instid0(VALU_DEP_3) | instskip(SKIP_1) | instid1(VALU_DEP_2)
	v_lshlrev_b64_e32 v[2:3], 3, v[2:3]
	v_add_co_ci_u32_e64 v38, s2, s7, v1, s2
	v_add_co_u32 v0, s2, v23, v2
	s_wait_alu 0xf1ff
	s_delay_alu instid0(VALU_DEP_2)
	v_add_co_ci_u32_e64 v1, s2, v38, v3, s2
	v_lshlrev_b64_e32 v[2:3], 3, v[21:22]
	s_wait_alu 0xfffe
	v_add_co_u32 v20, s2, v0, s4
	s_wait_alu 0xf1ff
	v_add_co_ci_u32_e64 v21, s2, s5, v1, s2
	global_load_b64 v[0:1], v[0:1], off
	v_add_co_u32 v2, s2, v23, v2
	s_wait_alu 0xf1ff
	v_add_co_ci_u32_e64 v3, s2, v38, v3, s2
	v_add_co_u32 v22, s2, v20, s4
	s_wait_alu 0xf1ff
	v_add_co_ci_u32_e64 v23, s2, s5, v21, s2
	global_load_b64 v[2:3], v[2:3], off
	v_add_co_u32 v38, s2, v22, s4
	s_wait_alu 0xf1ff
	v_add_co_ci_u32_e64 v39, s2, s5, v23, s2
	s_delay_alu instid0(VALU_DEP_2) | instskip(SKIP_1) | instid1(VALU_DEP_2)
	v_add_co_u32 v40, s2, v38, s4
	s_wait_alu 0xf1ff
	v_add_co_ci_u32_e64 v41, s2, s5, v39, s2
	s_clause 0x2
	global_load_b64 v[20:21], v[20:21], off
	global_load_b64 v[22:23], v[22:23], off
	;; [unrolled: 1-line block ×3, first 2 shown]
	v_add_co_u32 v42, s2, v40, s4
	s_wait_alu 0xf1ff
	v_add_co_ci_u32_e64 v43, s2, s5, v41, s2
	global_load_b64 v[40:41], v[40:41], off
	v_add_co_u32 v44, s2, v42, s4
	s_wait_alu 0xf1ff
	v_add_co_ci_u32_e64 v45, s2, s5, v43, s2
	global_load_b64 v[42:43], v[42:43], off
	v_add_co_u32 v47, s2, v44, s4
	s_wait_alu 0xf1ff
	v_add_co_ci_u32_e64 v48, s2, s5, v45, s2
	global_load_b64 v[44:45], v[44:45], off
	v_add_co_u32 v49, s2, v47, s4
	s_wait_alu 0xf1ff
	v_add_co_ci_u32_e64 v50, s2, s5, v48, s2
	global_load_b64 v[47:48], v[47:48], off
	v_add_co_u32 v51, s2, v49, s4
	s_wait_alu 0xf1ff
	v_add_co_ci_u32_e64 v52, s2, s5, v50, s2
	global_load_b64 v[49:50], v[49:50], off
	v_add_co_u32 v53, s2, v51, s4
	s_wait_alu 0xf1ff
	v_add_co_ci_u32_e64 v54, s2, s5, v52, s2
	global_load_b64 v[51:52], v[51:52], off
	v_add_co_u32 v55, s2, v53, s4
	s_wait_alu 0xf1ff
	v_add_co_ci_u32_e64 v56, s2, s5, v54, s2
	global_load_b64 v[53:54], v[53:54], off
	v_add_co_u32 v57, s2, v55, s4
	s_wait_alu 0xf1ff
	v_add_co_ci_u32_e64 v58, s2, s5, v56, s2
	global_load_b64 v[55:56], v[55:56], off
	v_add_co_u32 v59, s2, v57, s4
	s_wait_alu 0xf1ff
	v_add_co_ci_u32_e64 v60, s2, s5, v58, s2
	global_load_b64 v[57:58], v[57:58], off
	v_add_co_u32 v61, s2, v59, s4
	s_wait_alu 0xf1ff
	v_add_co_ci_u32_e64 v62, s2, s5, v60, s2
	global_load_b64 v[59:60], v[59:60], off
	v_add_co_u32 v63, s2, v61, s4
	s_wait_alu 0xf1ff
	v_add_co_ci_u32_e64 v64, s2, s5, v62, s2
	global_load_b64 v[61:62], v[61:62], off
	s_clause 0x1
	global_load_b64 v[65:66], v106, s[12:13] offset:8064
	global_load_b64 v[67:68], v106, s[12:13] offset:8640
	global_load_b64 v[63:64], v[63:64], off
	s_wait_loadcnt 0x12
	v_mul_f32_e32 v69, v1, v5
	v_mul_f32_e32 v5, v0, v5
	s_delay_alu instid0(VALU_DEP_2) | instskip(SKIP_4) | instid1(VALU_DEP_2)
	v_fmac_f32_e32 v69, v0, v4
	s_wait_loadcnt 0x11
	v_mul_f32_e32 v73, v3, v37
	v_mul_f32_e32 v37, v2, v37
	s_wait_loadcnt 0x10
	v_dual_fmac_f32 v73, v2, v36 :: v_dual_mul_f32 v0, v21, v7
	v_add_nc_u32_e32 v78, 0xc00, v71
	s_wait_loadcnt 0xf
	v_dual_mul_f32 v2, v23, v9 :: v_dual_add_nc_u32 v77, 0x800, v71
	s_delay_alu instid0(VALU_DEP_3) | instskip(SKIP_1) | instid1(VALU_DEP_3)
	v_dual_fmac_f32 v0, v20, v6 :: v_dual_add_nc_u32 v79, 0x1000, v71
	v_add_nc_u32_e32 v80, 0x1800, v71
	v_fmac_f32_e32 v2, v22, v8
	v_fma_f32 v70, v1, v4, -v5
	s_wait_loadcnt 0xe
	v_mul_f32_e32 v4, v39, v11
	v_mul_f32_e32 v1, v20, v7
	v_fma_f32 v74, v3, v36, -v37
	v_mul_f32_e32 v5, v38, v11
	s_delay_alu instid0(VALU_DEP_4) | instskip(NEXT) | instid1(VALU_DEP_4)
	v_fmac_f32_e32 v4, v38, v10
	v_fma_f32 v1, v21, v6, -v1
	s_wait_loadcnt 0xd
	v_mul_f32_e32 v6, v41, v13
	v_mul_f32_e32 v3, v22, v9
	ds_store_b64 v75, v[69:70]
	v_fmac_f32_e32 v6, v40, v12
	v_fma_f32 v3, v23, v8, -v3
	s_wait_loadcnt 0xc
	v_dual_mul_f32 v8, v43, v15 :: v_dual_mul_f32 v7, v40, v13
	ds_store_2addr_b64 v71, v[0:1], v[2:3] offset0:72 offset1:144
	v_fmac_f32_e32 v8, v42, v14
	v_fma_f32 v7, v41, v12, -v7
	s_wait_loadcnt 0xb
	v_mul_f32_e32 v0, v45, v17
	v_fma_f32 v5, v39, v10, -v5
	v_mul_f32_e32 v9, v42, v15
	s_wait_loadcnt 0xa
	v_mul_f32_e32 v2, v48, v19
	v_dual_mul_f32 v3, v47, v19 :: v_dual_fmac_f32 v0, v44, v16
	ds_store_2addr_b64 v76, v[4:5], v[6:7] offset0:88 offset1:160
	s_wait_loadcnt 0x9
	v_mul_f32_e32 v4, v50, v25
	v_mul_f32_e32 v5, v49, v25
	v_dual_mul_f32 v1, v44, v17 :: v_dual_fmac_f32 v2, v47, v18
	v_fma_f32 v9, v43, v14, -v9
	v_fma_f32 v3, v48, v18, -v3
	v_fmac_f32_e32 v4, v49, v24
	s_delay_alu instid0(VALU_DEP_4)
	v_fma_f32 v1, v45, v16, -v1
	v_fma_f32 v5, v50, v24, -v5
	s_wait_loadcnt 0x7
	v_mul_f32_e32 v6, v54, v29
	v_add_nc_u32_e32 v14, 0x2000, v71
	ds_store_2addr_b64 v77, v[8:9], v[0:1] offset0:104 offset1:176
	v_mul_f32_e32 v0, v52, v27
	v_mul_f32_e32 v1, v51, v27
	ds_store_2addr_b64 v78, v[2:3], v[4:5] offset0:120 offset1:192
	s_wait_loadcnt 0x6
	v_dual_mul_f32 v3, v53, v29 :: v_dual_mul_f32 v2, v56, v31
	s_wait_loadcnt 0x2
	v_mul_f32_e32 v11, v61, v66
	v_dual_fmac_f32 v0, v51, v26 :: v_dual_mul_f32 v5, v57, v33
	s_delay_alu instid0(VALU_DEP_3)
	v_fma_f32 v7, v54, v28, -v3
	v_dual_mul_f32 v3, v55, v31 :: v_dual_mul_f32 v4, v58, v33
	s_wait_loadcnt 0x0
	v_mul_f32_e32 v13, v63, v68
	v_dual_fmac_f32 v6, v53, v28 :: v_dual_mul_f32 v9, v59, v35
	v_mul_f32_e32 v8, v60, v35
	v_mul_f32_e32 v10, v62, v66
	;; [unrolled: 1-line block ×3, first 2 shown]
	v_fma_f32 v1, v52, v26, -v1
	v_fmac_f32_e32 v2, v55, v30
	v_fma_f32 v3, v56, v30, -v3
	v_fmac_f32_e32 v4, v57, v32
	;; [unrolled: 2-line block ×5, first 2 shown]
	v_fma_f32 v13, v64, v67, -v13
	ds_store_2addr_b64 v79, v[0:1], v[6:7] offset0:136 offset1:208
	ds_store_2addr_b64 v80, v[2:3], v[4:5] offset0:24 offset1:96
	;; [unrolled: 1-line block ×4, first 2 shown]
.LBB0_3:
	s_or_b32 exec_lo, exec_lo, s3
	s_clause 0x1
	s_load_b64 s[4:5], s[0:1], 0x20
	s_load_b64 s[2:3], s[0:1], 0x8
	v_mov_b32_e32 v4, 0
	v_mov_b32_e32 v5, 0
	global_wb scope:SCOPE_SE
	s_wait_dscnt 0x0
	s_wait_kmcnt 0x0
	s_barrier_signal -1
	s_barrier_wait -1
	global_inv scope:SCOPE_SE
                                        ; implicit-def: $vgpr18
                                        ; implicit-def: $vgpr12
                                        ; implicit-def: $vgpr8
                                        ; implicit-def: $vgpr36
                                        ; implicit-def: $vgpr26
                                        ; implicit-def: $vgpr30
                                        ; implicit-def: $vgpr34
                                        ; implicit-def: $vgpr22
	s_and_saveexec_b32 s0, vcc_lo
	s_cbranch_execz .LBB0_5
; %bb.4:
	v_lshl_add_u32 v0, v46, 3, v106
	ds_load_2addr_b64 v[4:7], v0 offset1:72
	ds_load_2addr_b64 v[20:23], v0 offset0:144 offset1:216
	v_add_nc_u32_e32 v1, 0x800, v0
	v_add_nc_u32_e32 v2, 0x1000, v0
	v_add_nc_u32_e32 v3, 0x1400, v0
	v_add_nc_u32_e32 v8, 0x1800, v0
	v_add_nc_u32_e32 v9, 0x1c00, v0
	ds_load_2addr_b64 v[32:35], v1 offset0:32 offset1:104
	ds_load_2addr_b64 v[28:31], v1 offset0:176 offset1:248
	;; [unrolled: 1-line block ×6, first 2 shown]
	ds_load_b64 v[36:37], v0 offset:9216
.LBB0_5:
	s_wait_alu 0xfffe
	s_or_b32 exec_lo, exec_lo, s0
	s_wait_dscnt 0x0
	v_sub_f32_e32 v42, v6, v36
	v_dual_sub_f32 v44, v7, v37 :: v_dual_add_f32 v47, v36, v6
	v_add_f32_e32 v48, v37, v7
	v_dual_sub_f32 v124, v32, v14 :: v_dual_add_f32 v57, v15, v33
	s_delay_alu instid0(VALU_DEP_3) | instskip(SKIP_2) | instid1(VALU_DEP_3)
	v_dual_mul_f32 v58, 0xbeb8f4ab, v42 :: v_dual_mul_f32 v53, 0xbeb8f4ab, v44
	v_dual_mul_f32 v65, 0xbf2c7751, v44 :: v_dual_sub_f32 v116, v20, v10
	v_sub_f32_e32 v45, v21, v11
	v_fma_f32 v1, 0x3f6eb680, v48, -v58
	s_delay_alu instid0(VALU_DEP_4) | instskip(NEXT) | instid1(VALU_DEP_4)
	v_fmamk_f32 v0, v47, 0x3f6eb680, v53
	v_dual_add_f32 v50, v11, v21 :: v_dual_mul_f32 v81, 0xbf7ee86f, v116
	v_dual_mul_f32 v60, 0xbf2c7751, v116 :: v_dual_sub_f32 v117, v23, v9
	s_delay_alu instid0(VALU_DEP_4) | instskip(NEXT) | instid1(VALU_DEP_4)
	v_add_f32_e32 v1, v1, v5
	v_dual_mul_f32 v69, 0xbf2c7751, v42 :: v_dual_add_f32 v0, v0, v4
	s_delay_alu instid0(VALU_DEP_4) | instskip(SKIP_1) | instid1(VALU_DEP_3)
	v_fma_f32 v51, 0x3dbcf732, v50, -v81
	v_dual_fmamk_f32 v2, v47, 0x3f3d2fb0, v65 :: v_dual_add_f32 v49, v10, v20
	v_fma_f32 v3, 0x3f3d2fb0, v48, -v69
	v_fma_f32 v41, 0x3f3d2fb0, v50, -v60
	s_delay_alu instid0(VALU_DEP_3) | instskip(SKIP_1) | instid1(VALU_DEP_4)
	v_dual_mul_f32 v59, 0xbf2c7751, v45 :: v_dual_add_f32 v2, v2, v4
	v_sub_f32_e32 v119, v22, v8
	v_dual_add_f32 v3, v3, v5 :: v_dual_mul_f32 v90, 0xbf65296c, v42
	s_delay_alu instid0(VALU_DEP_3) | instskip(SKIP_1) | instid1(VALU_DEP_3)
	v_fmamk_f32 v40, v49, 0x3f3d2fb0, v59
	v_dual_mul_f32 v95, 0xbf4c4adb, v116 :: v_dual_add_f32 v52, v9, v23
	v_add_f32_e32 v3, v51, v3
	s_delay_alu instid0(VALU_DEP_4) | instskip(SKIP_2) | instid1(VALU_DEP_3)
	v_fma_f32 v39, 0x3ee437d1, v48, -v90
	v_dual_mul_f32 v78, 0xbf65296c, v44 :: v_dual_add_f32 v1, v41, v1
	v_dual_mul_f32 v62, 0xbf65296c, v117 :: v_dual_mul_f32 v63, 0xbf65296c, v119
	v_add_f32_e32 v39, v39, v5
	s_delay_alu instid0(VALU_DEP_3) | instskip(SKIP_2) | instid1(VALU_DEP_2)
	v_fmamk_f32 v38, v47, 0x3ee437d1, v78
	v_dual_mul_f32 v71, 0xbf7ee86f, v45 :: v_dual_add_f32 v80, v17, v31
	v_dual_add_f32 v85, v27, v25 :: v_dual_sub_f32 v142, v24, v26
	v_dual_add_f32 v38, v38, v4 :: v_dual_fmamk_f32 v43, v49, 0x3dbcf732, v71
	v_add_f32_e32 v0, v40, v0
	s_delay_alu instid0(VALU_DEP_3) | instskip(NEXT) | instid1(VALU_DEP_3)
	v_dual_sub_f32 v140, v25, v27 :: v_dual_mul_f32 v99, 0xbe3c28d5, v142
	v_dual_mul_f32 v87, 0xbf4c4adb, v45 :: v_dual_add_f32 v2, v43, v2
	v_fma_f32 v43, 0x3ee437d1, v52, -v63
	s_delay_alu instid0(VALU_DEP_3) | instskip(SKIP_1) | instid1(VALU_DEP_4)
	v_mul_f32_e32 v109, 0x3eb8f4ab, v140
	v_dual_mul_f32 v135, 0xbe3c28d5, v45 :: v_dual_mul_f32 v144, 0xbe3c28d5, v116
	v_dual_fmamk_f32 v40, v49, 0xbf1a4643, v87 :: v_dual_add_f32 v51, v8, v22
	v_mul_f32_e32 v83, 0xbf4c4adb, v117
	v_dual_add_f32 v1, v43, v1 :: v_dual_sub_f32 v120, v33, v15
	s_delay_alu instid0(VALU_DEP_3) | instskip(SKIP_1) | instid1(VALU_DEP_4)
	v_add_f32_e32 v38, v40, v38
	v_fma_f32 v40, 0xbf1a4643, v50, -v95
	v_fmamk_f32 v54, v51, 0xbf1a4643, v83
	s_delay_alu instid0(VALU_DEP_4) | instskip(NEXT) | instid1(VALU_DEP_3)
	v_dual_add_f32 v64, v13, v35 :: v_dual_mul_f32 v97, 0x3f763a35, v120
	v_dual_mul_f32 v146, 0x3eb8f4ab, v124 :: v_dual_add_f32 v39, v40, v39
	s_delay_alu instid0(VALU_DEP_3) | instskip(SKIP_3) | instid1(VALU_DEP_4)
	v_dual_fmamk_f32 v41, v51, 0x3ee437d1, v62 :: v_dual_add_f32 v2, v54, v2
	v_mul_f32_e32 v89, 0xbf4c4adb, v119
	v_mul_f32_e32 v68, 0xbf7ee86f, v124
	;; [unrolled: 1-line block ×3, first 2 shown]
	v_add_f32_e32 v0, v41, v0
	v_dual_mul_f32 v151, 0xbf763a35, v44 :: v_dual_mul_f32 v160, 0xbf763a35, v42
	v_fma_f32 v40, 0xbf1a4643, v52, -v89
	v_mul_f32_e32 v92, 0x3e3c28d5, v117
	v_fma_f32 v54, 0x3dbcf732, v57, -v68
	v_mul_f32_e32 v102, 0x3e3c28d5, v119
	s_delay_alu instid0(VALU_DEP_4) | instskip(NEXT) | instid1(VALU_DEP_4)
	v_dual_sub_f32 v126, v35, v13 :: v_dual_add_f32 v3, v40, v3
	v_dual_add_f32 v56, v14, v32 :: v_dual_fmamk_f32 v41, v51, 0xbf7ba420, v92
	v_mul_f32_e32 v67, 0xbf7ee86f, v120
	v_add_f32_e32 v1, v54, v1
	v_fma_f32 v40, 0xbf7ba420, v52, -v102
	v_add_f32_e32 v61, v12, v34
	s_delay_alu instid0(VALU_DEP_4) | instskip(SKIP_1) | instid1(VALU_DEP_4)
	v_dual_add_f32 v38, v41, v38 :: v_dual_fmamk_f32 v43, v56, 0x3dbcf732, v67
	v_dual_mul_f32 v79, 0xbf763a35, v126 :: v_dual_sub_f32 v128, v34, v12
	v_add_f32_e32 v39, v40, v39
	v_dual_fmamk_f32 v40, v56, 0xbf7ba420, v91 :: v_dual_sub_f32 v129, v29, v19
	s_delay_alu instid0(VALU_DEP_4) | instskip(SKIP_4) | instid1(VALU_DEP_4)
	v_add_f32_e32 v0, v43, v0
	v_mul_f32_e32 v96, 0xbe3c28d5, v124
	v_dual_fmamk_f32 v43, v61, 0xbe8c1d8e, v79 :: v_dual_add_f32 v66, v18, v28
	v_fmamk_f32 v41, v56, 0xbe8c1d8e, v97
	v_add_f32_e32 v2, v40, v2
	v_fma_f32 v40, 0xbf7ba420, v57, -v96
	s_delay_alu instid0(VALU_DEP_4) | instskip(SKIP_2) | instid1(VALU_DEP_4)
	v_add_f32_e32 v0, v43, v0
	v_mul_f32_e32 v82, 0xbf763a35, v128
	v_dual_add_f32 v38, v41, v38 :: v_dual_mul_f32 v101, 0x3f06c442, v128
	v_dual_add_f32 v3, v40, v3 :: v_dual_mul_f32 v86, 0xbf4c4adb, v129
	v_sub_f32_e32 v137, v28, v18
	s_delay_alu instid0(VALU_DEP_4) | instskip(NEXT) | instid1(VALU_DEP_4)
	v_fma_f32 v40, 0xbe8c1d8e, v64, -v82
	v_fma_f32 v41, 0xbf59a7d5, v64, -v101
	v_mul_f32_e32 v100, 0x3f06c442, v126
	v_dual_fmamk_f32 v43, v66, 0xbf1a4643, v86 :: v_dual_add_f32 v70, v19, v29
	s_delay_alu instid0(VALU_DEP_4)
	v_add_f32_e32 v1, v40, v1
	v_dual_mul_f32 v88, 0xbf4c4adb, v137 :: v_dual_sub_f32 v139, v30, v16
	v_add_f32_e32 v3, v41, v3
	v_dual_fmamk_f32 v40, v61, 0xbf59a7d5, v100 :: v_dual_add_f32 v77, v16, v30
	v_mul_f32_e32 v103, 0x3f763a35, v129
	v_sub_f32_e32 v138, v31, v17
	v_add_f32_e32 v0, v43, v0
	s_delay_alu instid0(VALU_DEP_4)
	v_add_f32_e32 v2, v40, v2
	v_fma_f32 v40, 0xbf1a4643, v70, -v88
	v_mul_f32_e32 v104, 0x3f763a35, v137
	v_mul_f32_e32 v93, 0xbf06c442, v138
	v_dual_mul_f32 v111, 0x3f65296c, v139 :: v_dual_add_f32 v84, v26, v24
	v_mul_f32_e32 v113, 0x3f2c7751, v126
	v_dual_add_f32 v1, v40, v1 :: v_dual_fmamk_f32 v40, v66, 0xbe8c1d8e, v103
	v_mul_f32_e32 v94, 0xbf06c442, v139
	v_fma_f32 v41, 0xbe8c1d8e, v70, -v104
	v_fmamk_f32 v43, v77, 0xbf59a7d5, v93
	v_mul_f32_e32 v98, 0xbe3c28d5, v140
	v_add_f32_e32 v2, v40, v2
	v_fma_f32 v40, 0xbf59a7d5, v80, -v94
	v_add_f32_e32 v3, v41, v3
	v_dual_mul_f32 v115, 0xbf7ee86f, v138 :: v_dual_mul_f32 v134, 0xbf7ee86f, v44
	v_dual_mul_f32 v132, 0xbf65296c, v126 :: v_dual_mul_f32 v147, 0xbf65296c, v128
	s_delay_alu instid0(VALU_DEP_4) | instskip(SKIP_3) | instid1(VALU_DEP_4)
	v_dual_add_f32 v1, v40, v1 :: v_dual_mul_f32 v110, 0x3f65296c, v138
	v_add_f32_e32 v0, v43, v0
	v_fma_f32 v43, 0xbf7ba420, v85, -v99
	v_dual_mul_f32 v148, 0xbf06c442, v137 :: v_dual_mul_f32 v127, 0xbf06c442, v142
	v_fmamk_f32 v41, v77, 0x3ee437d1, v110
	v_mul_f32_e32 v149, 0x3f2c7751, v142
	v_dual_mul_f32 v157, 0xbf4c4adb, v140 :: v_dual_mul_f32 v162, 0xbf4c4adb, v142
	v_dual_mul_f32 v152, 0xbe3c28d5, v126 :: v_dual_mul_f32 v165, 0xbe3c28d5, v128
	s_delay_alu instid0(VALU_DEP_4)
	v_dual_add_f32 v40, v41, v2 :: v_dual_fmamk_f32 v41, v84, 0xbf7ba420, v98
	v_fma_f32 v2, 0x3ee437d1, v80, -v111
	v_mul_f32_e32 v121, 0x3f763a35, v124
	v_fma_f32 v76, 0x3f3d2fb0, v85, -v149
	v_mul_f32_e32 v155, 0x3f06c442, v45
	v_fma_f32 v168, 0xbf1a4643, v85, -v162
	v_add_f32_e32 v54, v2, v3
	v_add_f32_e32 v2, v41, v0
	v_fma_f32 v0, 0xbe8c1d8e, v57, -v121
	v_dual_mul_f32 v122, 0x3f2c7751, v128 :: v_dual_add_f32 v3, v43, v1
	v_fmamk_f32 v1, v84, 0x3f6eb680, v109
	v_mul_f32_e32 v123, 0xbeb8f4ab, v137
	s_delay_alu instid0(VALU_DEP_4) | instskip(NEXT) | instid1(VALU_DEP_4)
	v_add_f32_e32 v39, v0, v39
	v_fma_f32 v55, 0x3f3d2fb0, v64, -v122
	v_mul_f32_e32 v112, 0x3eb8f4ab, v142
	v_dual_add_f32 v0, v1, v40 :: v_dual_mul_f32 v125, 0xbf7ee86f, v139
	v_mul_f32_e32 v161, 0x3f06c442, v116
	s_delay_alu instid0(VALU_DEP_4) | instskip(NEXT) | instid1(VALU_DEP_4)
	v_add_f32_e32 v39, v55, v39
	v_fma_f32 v41, 0x3f6eb680, v85, -v112
	v_mul_f32_e32 v114, 0xbeb8f4ab, v129
	v_mul_f32_e32 v153, 0x3f7ee86f, v129
	v_fma_f32 v74, 0xbf59a7d5, v50, -v161
	s_delay_alu instid0(VALU_DEP_4)
	v_dual_mul_f32 v156, 0x3f2c7751, v117 :: v_dual_add_f32 v1, v41, v54
	v_fmamk_f32 v41, v47, 0x3dbcf732, v134
	v_fmamk_f32 v40, v66, 0x3f6eb680, v114
	v_mul_f32_e32 v159, 0xbeb8f4ab, v139
	v_mul_f32_e32 v141, 0x3f2c7751, v140
	v_fmamk_f32 v167, v84, 0xbf1a4643, v157
	v_add_f32_e32 v41, v41, v4
	v_fmamk_f32 v43, v61, 0x3f3d2fb0, v113
	global_wb scope:SCOPE_SE
	s_barrier_signal -1
	s_barrier_wait -1
	global_inv scope:SCOPE_SE
	v_add_f32_e32 v38, v43, v38
	v_fma_f32 v43, 0x3f6eb680, v70, -v123
	v_mul_f32_e32 v163, 0x3f2c7751, v119
	v_mul_f32_e32 v164, 0x3f7ee86f, v137
	;; [unrolled: 1-line block ×3, first 2 shown]
	s_delay_alu instid0(VALU_DEP_4) | instskip(SKIP_2) | instid1(VALU_DEP_1)
	v_dual_add_f32 v38, v40, v38 :: v_dual_add_f32 v39, v43, v39
	v_fmamk_f32 v43, v49, 0xbf7ba420, v135
	v_mul_f32_e32 v143, 0xbf7ee86f, v42
	v_fma_f32 v54, 0x3dbcf732, v48, -v143
	v_fmamk_f32 v40, v77, 0x3dbcf732, v115
	s_delay_alu instid0(VALU_DEP_1) | instskip(SKIP_1) | instid1(VALU_DEP_1)
	v_add_f32_e32 v38, v40, v38
	v_fma_f32 v40, 0x3dbcf732, v80, -v125
	v_dual_mul_f32 v130, 0x3f763a35, v117 :: v_dual_add_f32 v39, v40, v39
	v_add_f32_e32 v40, v43, v41
	v_add_f32_e32 v41, v54, v5
	v_fma_f32 v43, 0xbf7ba420, v50, -v144
	v_mul_f32_e32 v118, 0xbf06c442, v140
	v_fmamk_f32 v54, v51, 0xbe8c1d8e, v130
	s_delay_alu instid0(VALU_DEP_3) | instskip(NEXT) | instid1(VALU_DEP_3)
	v_add_f32_e32 v41, v43, v41
	v_fmamk_f32 v55, v84, 0xbf59a7d5, v118
	v_mul_f32_e32 v131, 0x3eb8f4ab, v120
	s_delay_alu instid0(VALU_DEP_4) | instskip(NEXT) | instid1(VALU_DEP_2)
	v_add_f32_e32 v40, v54, v40
	v_fmamk_f32 v54, v56, 0x3f6eb680, v131
	s_delay_alu instid0(VALU_DEP_1) | instskip(NEXT) | instid1(VALU_DEP_1)
	v_dual_mul_f32 v145, 0x3f763a35, v119 :: v_dual_add_f32 v40, v54, v40
	v_fma_f32 v43, 0xbe8c1d8e, v52, -v145
	v_dual_mul_f32 v133, 0xbf06c442, v129 :: v_dual_add_f32 v54, v55, v38
	v_fma_f32 v55, 0xbf59a7d5, v85, -v127
	s_delay_alu instid0(VALU_DEP_3) | instskip(SKIP_1) | instid1(VALU_DEP_3)
	v_add_f32_e32 v41, v43, v41
	v_fma_f32 v43, 0x3f6eb680, v57, -v146
	v_add_f32_e32 v55, v55, v39
	s_delay_alu instid0(VALU_DEP_2) | instskip(SKIP_1) | instid1(VALU_DEP_1)
	v_add_f32_e32 v38, v43, v41
	v_fma_f32 v41, 0x3ee437d1, v64, -v147
	v_dual_fmamk_f32 v43, v66, 0xbf59a7d5, v133 :: v_dual_add_f32 v38, v41, v38
	v_fma_f32 v41, 0xbf59a7d5, v70, -v148
	v_fmamk_f32 v73, v61, 0x3ee437d1, v132
	s_delay_alu instid0(VALU_DEP_2) | instskip(NEXT) | instid1(VALU_DEP_2)
	v_dual_add_f32 v38, v41, v38 :: v_dual_fmamk_f32 v41, v47, 0xbe8c1d8e, v151
	v_add_f32_e32 v40, v73, v40
	v_fmamk_f32 v73, v49, 0xbf59a7d5, v155
	s_delay_alu instid0(VALU_DEP_3) | instskip(NEXT) | instid1(VALU_DEP_1)
	v_dual_add_f32 v41, v41, v4 :: v_dual_mul_f32 v136, 0x3f4c4adb, v138
	v_dual_add_f32 v40, v43, v40 :: v_dual_add_f32 v41, v73, v41
	v_fmamk_f32 v73, v51, 0x3f3d2fb0, v156
	s_delay_alu instid0(VALU_DEP_1) | instskip(NEXT) | instid1(VALU_DEP_1)
	v_dual_mul_f32 v150, 0x3f4c4adb, v139 :: v_dual_add_f32 v41, v73, v41
	v_fma_f32 v75, 0xbf1a4643, v80, -v150
	s_delay_alu instid0(VALU_DEP_1) | instskip(NEXT) | instid1(VALU_DEP_1)
	v_dual_fmamk_f32 v43, v77, 0xbf1a4643, v136 :: v_dual_add_f32 v38, v75, v38
	v_add_f32_e32 v40, v43, v40
	v_fma_f32 v43, 0xbe8c1d8e, v48, -v160
	v_fmamk_f32 v75, v84, 0x3f3d2fb0, v141
	s_delay_alu instid0(VALU_DEP_2) | instskip(NEXT) | instid1(VALU_DEP_1)
	v_add_f32_e32 v43, v43, v5
	v_add_f32_e32 v43, v74, v43
	v_fma_f32 v74, 0x3f3d2fb0, v52, -v163
	s_delay_alu instid0(VALU_DEP_1) | instskip(NEXT) | instid1(VALU_DEP_1)
	v_dual_mul_f32 v158, 0xbf65296c, v120 :: v_dual_add_f32 v43, v74, v43
	v_fmamk_f32 v73, v56, 0x3ee437d1, v158
	s_delay_alu instid0(VALU_DEP_1) | instskip(NEXT) | instid1(VALU_DEP_1)
	v_dual_mul_f32 v166, 0xbf65296c, v124 :: v_dual_add_f32 v41, v73, v41
	v_fma_f32 v74, 0x3ee437d1, v57, -v166
	v_fmamk_f32 v73, v61, 0xbf7ba420, v152
	s_delay_alu instid0(VALU_DEP_2) | instskip(SKIP_1) | instid1(VALU_DEP_3)
	v_add_f32_e32 v43, v74, v43
	v_fma_f32 v74, 0xbf7ba420, v64, -v165
	v_add_f32_e32 v41, v73, v41
	v_fmamk_f32 v73, v66, 0x3dbcf732, v153
	s_delay_alu instid0(VALU_DEP_3) | instskip(SKIP_1) | instid1(VALU_DEP_3)
	v_add_f32_e32 v43, v74, v43
	v_fma_f32 v74, 0x3dbcf732, v70, -v164
	v_add_f32_e32 v41, v73, v41
	v_fmamk_f32 v73, v77, 0x3f6eb680, v154
	s_delay_alu instid0(VALU_DEP_3) | instskip(SKIP_1) | instid1(VALU_DEP_3)
	v_add_f32_e32 v43, v74, v43
	v_fma_f32 v74, 0x3f6eb680, v80, -v159
	v_add_f32_e32 v41, v73, v41
	v_add_f32_e32 v73, v75, v40
	s_delay_alu instid0(VALU_DEP_3) | instskip(NEXT) | instid1(VALU_DEP_1)
	v_dual_add_f32 v43, v74, v43 :: v_dual_add_f32 v74, v76, v38
	v_dual_add_f32 v75, v167, v41 :: v_dual_add_f32 v76, v168, v43
	s_and_saveexec_b32 s0, vcc_lo
	s_cbranch_execz .LBB0_7
; %bb.6:
	v_mul_f32_e32 v188, 0x3eb8f4ab, v45
	v_mul_f32_e32 v43, 0xbf59a7d5, v48
	;; [unrolled: 1-line block ×5, first 2 shown]
	v_fmamk_f32 v190, v49, 0x3f6eb680, v188
	v_mul_f32_e32 v182, 0x3f6eb680, v50
	v_fmamk_f32 v38, v42, 0x3f06c442, v43
	v_fmamk_f32 v175, v56, 0xbf1a4643, v173
	v_mul_f32_e32 v177, 0xbe3c28d5, v129
	v_mul_f32_e32 v180, 0xbe8c1d8e, v85
	v_fmamk_f32 v184, v116, 0xbeb8f4ab, v182
	v_dual_mul_f32 v167, 0x3ee437d1, v50 :: v_dual_add_f32 v38, v38, v5
	v_mul_f32_e32 v192, 0x3ee437d1, v70
	s_delay_alu instid0(VALU_DEP_4) | instskip(SKIP_1) | instid1(VALU_DEP_4)
	v_fmamk_f32 v183, v142, 0x3f763a35, v180
	v_fmac_f32_e32 v43, 0xbf06c442, v42
	v_fmamk_f32 v40, v116, 0xbf65296c, v167
	v_mul_f32_e32 v169, 0x3f65296c, v45
	v_dual_add_f32 v7, v7, v5 :: v_dual_add_f32 v6, v6, v4
	s_delay_alu instid0(VALU_DEP_2) | instskip(SKIP_4) | instid1(VALU_DEP_4)
	v_dual_add_f32 v38, v40, v38 :: v_dual_fmamk_f32 v41, v49, 0x3ee437d1, v169
	v_mul_f32_e32 v168, 0xbf06c442, v44
	v_mul_f32_e32 v171, 0xbf7ee86f, v117
	v_fma_f32 v169, 0x3ee437d1, v49, -v169
	v_dual_add_f32 v7, v21, v7 :: v_dual_add_f32 v6, v20, v6
	v_fmamk_f32 v39, v47, 0xbf59a7d5, v168
	s_delay_alu instid0(VALU_DEP_4) | instskip(NEXT) | instid1(VALU_DEP_3)
	v_fmamk_f32 v40, v51, 0x3dbcf732, v171
	v_dual_add_f32 v7, v23, v7 :: v_dual_add_f32 v6, v22, v6
	s_delay_alu instid0(VALU_DEP_3) | instskip(NEXT) | instid1(VALU_DEP_2)
	v_add_f32_e32 v39, v39, v4
	v_dual_add_f32 v7, v33, v7 :: v_dual_add_f32 v6, v32, v6
	s_delay_alu instid0(VALU_DEP_2) | instskip(SKIP_3) | instid1(VALU_DEP_4)
	v_dual_add_f32 v39, v41, v39 :: v_dual_mul_f32 v170, 0x3dbcf732, v52
	v_fmamk_f32 v41, v124, 0xbf4c4adb, v172
	v_fma_f32 v168, 0xbf59a7d5, v47, -v168
	v_fmamk_f32 v195, v137, 0xbf65296c, v192
	v_add_f32_e32 v39, v40, v39
	v_dual_add_f32 v43, v43, v5 :: v_dual_fmac_f32 v172, 0x3f4c4adb, v124
	s_delay_alu instid0(VALU_DEP_4) | instskip(NEXT) | instid1(VALU_DEP_3)
	v_add_f32_e32 v168, v168, v4
	v_dual_mul_f32 v186, 0xbf763a35, v140 :: v_dual_add_f32 v39, v175, v39
	v_fmamk_f32 v174, v119, 0x3f7ee86f, v170
	v_mul_f32_e32 v175, 0xbf7ba420, v70
	v_fmac_f32_e32 v170, 0xbf7ee86f, v119
	s_delay_alu instid0(VALU_DEP_4)
	v_fmamk_f32 v194, v84, 0xbe8c1d8e, v186
	v_mul_f32_e32 v179, 0x3f2c7751, v138
	v_add_f32_e32 v38, v174, v38
	v_mul_f32_e32 v174, 0x3f6eb680, v64
	v_mul_f32_e32 v178, 0x3f3d2fb0, v80
	v_add_f32_e32 v168, v169, v168
	v_fma_f32 v169, 0x3dbcf732, v51, -v171
	v_add_f32_e32 v38, v41, v38
	v_fmamk_f32 v41, v61, 0x3f6eb680, v176
	v_dual_add_f32 v7, v35, v7 :: v_dual_add_f32 v6, v34, v6
	s_delay_alu instid0(VALU_DEP_4) | instskip(NEXT) | instid1(VALU_DEP_3)
	v_add_f32_e32 v168, v169, v168
	v_add_f32_e32 v39, v41, v39
	v_fmamk_f32 v41, v66, 0xbf7ba420, v177
	s_delay_alu instid0(VALU_DEP_4) | instskip(NEXT) | instid1(VALU_DEP_2)
	v_dual_add_f32 v7, v29, v7 :: v_dual_add_f32 v6, v28, v6
	v_dual_add_f32 v39, v41, v39 :: v_dual_fmamk_f32 v40, v128, 0x3eb8f4ab, v174
	s_delay_alu instid0(VALU_DEP_2) | instskip(NEXT) | instid1(VALU_DEP_3)
	v_dual_fmac_f32 v174, 0xbeb8f4ab, v128 :: v_dual_add_f32 v7, v31, v7
	v_add_f32_e32 v6, v30, v6
	s_delay_alu instid0(VALU_DEP_3) | instskip(SKIP_1) | instid1(VALU_DEP_3)
	v_add_f32_e32 v38, v40, v38
	v_fmamk_f32 v40, v137, 0x3e3c28d5, v175
	v_dual_add_f32 v7, v25, v7 :: v_dual_add_f32 v6, v24, v6
	s_delay_alu instid0(VALU_DEP_2) | instskip(SKIP_2) | instid1(VALU_DEP_4)
	v_add_f32_e32 v38, v40, v38
	v_mul_f32_e32 v40, 0xbf7ba420, v48
	v_fma_f32 v169, 0xbf1a4643, v56, -v173
	v_add_f32_e32 v7, v27, v7
	s_delay_alu instid0(VALU_DEP_3) | instskip(SKIP_1) | instid1(VALU_DEP_4)
	v_fmamk_f32 v181, v42, 0x3e3c28d5, v40
	v_fmac_f32_e32 v40, 0xbe3c28d5, v42
	v_dual_fmamk_f32 v41, v139, 0xbf2c7751, v178 :: v_dual_add_f32 v168, v169, v168
	s_delay_alu instid0(VALU_DEP_4) | instskip(NEXT) | instid1(VALU_DEP_4)
	v_add_f32_e32 v17, v17, v7
	v_add_f32_e32 v181, v181, v5
	s_delay_alu instid0(VALU_DEP_4) | instskip(NEXT) | instid1(VALU_DEP_4)
	v_add_f32_e32 v40, v40, v5
	v_add_f32_e32 v38, v41, v38
	v_fmamk_f32 v41, v77, 0x3f3d2fb0, v179
	v_fma_f32 v169, 0x3f6eb680, v61, -v176
	v_dual_fmac_f32 v178, 0x3f2c7751, v139 :: v_dual_add_f32 v17, v19, v17
	s_delay_alu instid0(VALU_DEP_3) | instskip(SKIP_4) | instid1(VALU_DEP_3)
	v_add_f32_e32 v41, v41, v39
	v_add_f32_e32 v39, v183, v38
	v_dual_mul_f32 v183, 0xbe3c28d5, v44 :: v_dual_add_f32 v38, v184, v181
	v_dual_fmac_f32 v192, 0x3f65296c, v137 :: v_dual_fmac_f32 v167, 0x3f65296c, v116
	v_mul_f32_e32 v191, 0xbf06c442, v117
	v_fmamk_f32 v187, v47, 0xbf7ba420, v183
	v_mul_f32_e32 v185, 0xbf59a7d5, v52
	v_add_f32_e32 v13, v13, v17
	v_add_f32_e32 v43, v167, v43
	s_delay_alu instid0(VALU_DEP_4) | instskip(NEXT) | instid1(VALU_DEP_3)
	v_add_f32_e32 v187, v187, v4
	v_add_f32_e32 v13, v15, v13
	s_delay_alu instid0(VALU_DEP_3) | instskip(SKIP_1) | instid1(VALU_DEP_4)
	v_add_f32_e32 v43, v170, v43
	v_mul_f32_e32 v189, 0xbf1a4643, v64
	v_dual_add_f32 v187, v190, v187 :: v_dual_fmamk_f32 v190, v51, 0xbf59a7d5, v191
	v_mul_f32_e32 v184, 0x3f3d2fb0, v57
	v_fmac_f32_e32 v182, 0x3eb8f4ab, v116
	v_dual_fmamk_f32 v181, v119, 0x3f06c442, v185 :: v_dual_add_f32 v170, v172, v43
	s_delay_alu instid0(VALU_DEP_4) | instskip(SKIP_1) | instid1(VALU_DEP_4)
	v_add_f32_e32 v187, v190, v187
	v_mul_f32_e32 v193, 0x3f2c7751, v120
	v_add_f32_e32 v40, v182, v40
	s_delay_alu instid0(VALU_DEP_4)
	v_add_f32_e32 v38, v181, v38
	v_dual_add_f32 v170, v174, v170 :: v_dual_fmamk_f32 v181, v124, 0xbf2c7751, v184
	v_fmac_f32_e32 v185, 0xbf06c442, v119
	v_fmac_f32_e32 v184, 0x3f2c7751, v124
	v_mul_f32_e32 v172, 0xbf4c4adb, v42
	v_mul_f32_e32 v174, 0xbeb8f4ab, v117
	v_dual_add_f32 v38, v181, v38 :: v_dual_fmamk_f32 v181, v128, 0x3f4c4adb, v189
	v_add_f32_e32 v40, v185, v40
	v_fmac_f32_e32 v189, 0xbf4c4adb, v128
	v_add_f32_e32 v9, v9, v13
	s_delay_alu instid0(VALU_DEP_4) | instskip(SKIP_1) | instid1(VALU_DEP_3)
	v_dual_add_f32 v181, v181, v38 :: v_dual_add_f32 v38, v194, v41
	v_mul_f32_e32 v194, 0xbe8c1d8e, v80
	v_dual_add_f32 v40, v184, v40 :: v_dual_add_f32 v9, v11, v9
	s_delay_alu instid0(VALU_DEP_3) | instskip(SKIP_1) | instid1(VALU_DEP_4)
	v_add_f32_e32 v41, v195, v181
	v_mul_f32_e32 v195, 0xbf763a35, v138
	v_fmamk_f32 v197, v139, 0x3f763a35, v194
	v_fmamk_f32 v190, v56, 0x3f3d2fb0, v193
	v_add_f32_e32 v40, v189, v40
	v_mul_f32_e32 v138, 0xbe3c28d5, v138
	v_fmamk_f32 v182, v77, 0xbe8c1d8e, v195
	v_dual_mul_f32 v196, 0xbf4c4adb, v126 :: v_dual_add_f32 v41, v197, v41
	v_add_f32_e32 v181, v190, v187
	v_fma_f32 v185, 0x3f6eb680, v49, -v188
	v_mul_f32_e32 v190, 0x3f65296c, v129
	s_delay_alu instid0(VALU_DEP_4) | instskip(SKIP_1) | instid1(VALU_DEP_2)
	v_dual_fmamk_f32 v187, v61, 0xbf1a4643, v196 :: v_dual_add_f32 v188, v192, v40
	v_mul_f32_e32 v129, 0xbf2c7751, v129
	v_add_f32_e32 v181, v187, v181
	s_delay_alu instid0(VALU_DEP_4) | instskip(NEXT) | instid1(VALU_DEP_1)
	v_fmamk_f32 v187, v66, 0x3ee437d1, v190
	v_add_f32_e32 v181, v187, v181
	s_delay_alu instid0(VALU_DEP_1) | instskip(SKIP_2) | instid1(VALU_DEP_2)
	v_add_f32_e32 v181, v182, v181
	v_mul_f32_e32 v182, 0x3dbcf732, v85
	v_mul_f32_e32 v187, 0x3f7ee86f, v140
	v_fmamk_f32 v184, v142, 0xbf7ee86f, v182
	s_delay_alu instid0(VALU_DEP_1) | instskip(NEXT) | instid1(VALU_DEP_3)
	v_add_f32_e32 v41, v184, v41
	v_fmamk_f32 v184, v84, 0x3dbcf732, v187
	v_fmac_f32_e32 v194, 0xbf763a35, v139
	s_delay_alu instid0(VALU_DEP_2) | instskip(SKIP_1) | instid1(VALU_DEP_3)
	v_dual_mul_f32 v139, 0xbe3c28d5, v139 :: v_dual_add_f32 v40, v184, v181
	v_fma_f32 v183, 0xbf7ba420, v47, -v183
	v_add_f32_e32 v184, v194, v188
	s_delay_alu instid0(VALU_DEP_2) | instskip(NEXT) | instid1(VALU_DEP_1)
	v_add_f32_e32 v183, v183, v4
	v_add_f32_e32 v183, v185, v183
	v_fma_f32 v185, 0xbf59a7d5, v51, -v191
	s_delay_alu instid0(VALU_DEP_1) | instskip(SKIP_1) | instid1(VALU_DEP_1)
	v_add_f32_e32 v183, v185, v183
	v_fma_f32 v185, 0x3f3d2fb0, v56, -v193
	v_add_f32_e32 v181, v185, v183
	v_fma_f32 v183, 0xbf1a4643, v61, -v196
	s_delay_alu instid0(VALU_DEP_1) | instskip(SKIP_1) | instid1(VALU_DEP_1)
	v_add_f32_e32 v181, v183, v181
	v_fma_f32 v183, 0x3ee437d1, v66, -v190
	v_add_f32_e32 v167, v183, v181
	v_fma_f32 v181, 0xbe8c1d8e, v77, -v195
	s_delay_alu instid0(VALU_DEP_1) | instskip(SKIP_1) | instid1(VALU_DEP_1)
	v_dual_add_f32 v167, v181, v167 :: v_dual_fmac_f32 v182, 0x3f7ee86f, v142
	v_fma_f32 v171, 0x3dbcf732, v84, -v187
	v_dual_add_f32 v43, v182, v184 :: v_dual_add_f32 v42, v171, v167
	v_add_f32_e32 v167, v169, v168
	v_fma_f32 v168, 0xbf7ba420, v66, -v177
	s_delay_alu instid0(VALU_DEP_1) | instskip(SKIP_1) | instid1(VALU_DEP_1)
	v_dual_mul_f32 v171, 0x3f763a35, v116 :: v_dual_add_f32 v116, v168, v167
	v_fma_f32 v167, 0x3f3d2fb0, v77, -v179
	v_dual_fmac_f32 v175, 0xbe3c28d5, v137 :: v_dual_add_f32 v116, v167, v116
	s_delay_alu instid0(VALU_DEP_1) | instskip(SKIP_1) | instid1(VALU_DEP_2)
	v_dual_add_f32 v169, v175, v170 :: v_dual_fmamk_f32 v170, v48, 0xbf1a4643, v172
	v_mul_f32_e32 v137, 0xbf2c7751, v137
	v_add_f32_e32 v168, v170, v5
	v_fmamk_f32 v170, v50, 0xbe8c1d8e, v171
	v_mul_f32_e32 v173, 0xbeb8f4ab, v119
	s_delay_alu instid0(VALU_DEP_4)
	v_fmamk_f32 v176, v70, 0x3f3d2fb0, v137
	v_mul_f32_e32 v167, 0xbf4c4adb, v44
	v_add_f32_e32 v119, v178, v169
	v_add_f32_e32 v44, v170, v168
	v_fmamk_f32 v168, v52, 0x3f6eb680, v173
	v_mul_f32_e32 v170, 0x3f763a35, v45
	v_fma_f32 v169, 0xbf1a4643, v47, -v167
	v_fma_f32 v19, 0xbe8c1d8e, v50, -v171
	;; [unrolled: 1-line block ×3, first 2 shown]
	v_add_f32_e32 v44, v168, v44
	s_delay_alu instid0(VALU_DEP_4) | instskip(SKIP_1) | instid1(VALU_DEP_1)
	v_add_f32_e32 v168, v169, v4
	v_fma_f32 v169, 0xbe8c1d8e, v49, -v170
	v_add_f32_e32 v117, v169, v168
	v_fma_f32 v168, 0x3f6eb680, v51, -v174
	v_mul_f32_e32 v124, 0xbf06c442, v124
	v_mul_f32_e32 v169, 0xbf06c442, v120
	v_fma_f32 v120, 0xbe8c1d8e, v84, -v186
	s_delay_alu instid0(VALU_DEP_4) | instskip(NEXT) | instid1(VALU_DEP_4)
	v_add_f32_e32 v117, v168, v117
	v_fmamk_f32 v45, v57, 0xbf59a7d5, v124
	s_delay_alu instid0(VALU_DEP_4) | instskip(SKIP_2) | instid1(VALU_DEP_3)
	v_fma_f32 v168, 0xbf59a7d5, v56, -v169
	v_mul_f32_e32 v128, 0x3f7ee86f, v128
	v_fma_f32 v15, 0xbf59a7d5, v57, -v124
	v_dual_add_f32 v44, v45, v44 :: v_dual_add_f32 v117, v168, v117
	s_delay_alu instid0(VALU_DEP_3) | instskip(SKIP_3) | instid1(VALU_DEP_4)
	v_fmamk_f32 v45, v64, 0x3dbcf732, v128
	v_fmac_f32_e32 v180, 0xbf763a35, v142
	v_mul_f32_e32 v142, 0x3f65296c, v142
	v_fma_f32 v13, 0x3dbcf732, v64, -v128
	v_add_f32_e32 v175, v45, v44
	s_delay_alu instid0(VALU_DEP_4) | instskip(SKIP_2) | instid1(VALU_DEP_2)
	v_add_f32_e32 v45, v180, v119
	v_mul_f32_e32 v119, 0xbe8c1d8e, v48
	v_add_f32_e32 v44, v120, v116
	v_dual_fmac_f32 v170, 0xbe8c1d8e, v49 :: v_dual_add_f32 v119, v160, v119
	v_mul_f32_e32 v126, 0x3f7ee86f, v126
	s_delay_alu instid0(VALU_DEP_2) | instskip(NEXT) | instid1(VALU_DEP_2)
	v_dual_fmac_f32 v174, 0x3f6eb680, v51 :: v_dual_add_f32 v119, v119, v5
	v_fma_f32 v120, 0x3dbcf732, v61, -v126
	v_fmac_f32_e32 v126, 0x3dbcf732, v61
	s_delay_alu instid0(VALU_DEP_2) | instskip(SKIP_4) | instid1(VALU_DEP_3)
	v_add_f32_e32 v117, v120, v117
	v_fma_f32 v120, 0x3f3d2fb0, v66, -v129
	v_mul_f32_e32 v168, 0xbf59a7d5, v50
	v_dual_add_f32 v116, v176, v175 :: v_dual_fmac_f32 v129, 0x3f3d2fb0, v66
	v_fmac_f32_e32 v167, 0xbf1a4643, v47
	v_dual_add_f32 v117, v120, v117 :: v_dual_add_f32 v160, v161, v168
	v_mul_f32_e32 v161, 0x3f3d2fb0, v52
	v_fma_f32 v120, 0xbf7ba420, v77, -v138
	s_delay_alu instid0(VALU_DEP_3) | instskip(NEXT) | instid1(VALU_DEP_3)
	v_dual_fmac_f32 v138, 0xbf7ba420, v77 :: v_dual_add_f32 v119, v160, v119
	v_add_f32_e32 v160, v163, v161
	v_mul_f32_e32 v161, 0x3ee437d1, v57
	v_fmamk_f32 v168, v80, 0xbf7ba420, v139
	v_dual_add_f32 v120, v120, v117 :: v_dual_fmac_f32 v169, 0xbf59a7d5, v56
	s_delay_alu instid0(VALU_DEP_4) | instskip(NEXT) | instid1(VALU_DEP_4)
	v_dual_add_f32 v117, v160, v119 :: v_dual_mul_f32 v160, 0xbf7ba420, v64
	v_add_f32_e32 v119, v166, v161
	s_delay_alu instid0(VALU_DEP_4) | instskip(SKIP_1) | instid1(VALU_DEP_3)
	v_dual_mul_f32 v163, 0xbe8c1d8e, v47 :: v_dual_add_f32 v116, v168, v116
	v_fmamk_f32 v161, v85, 0x3ee437d1, v142
	v_dual_mul_f32 v140, 0x3f65296c, v140 :: v_dual_add_f32 v119, v119, v117
	v_add_f32_e32 v160, v165, v160
	s_delay_alu instid0(VALU_DEP_4) | instskip(NEXT) | instid1(VALU_DEP_4)
	v_dual_mul_f32 v166, 0xbf59a7d5, v49 :: v_dual_sub_f32 v151, v163, v151
	v_add_f32_e32 v117, v161, v116
	s_delay_alu instid0(VALU_DEP_4) | instskip(NEXT) | instid1(VALU_DEP_4)
	v_fma_f32 v161, 0x3ee437d1, v84, -v140
	v_dual_mul_f32 v165, 0x3dbcf732, v70 :: v_dual_add_f32 v116, v160, v119
	s_delay_alu instid0(VALU_DEP_4) | instskip(SKIP_1) | instid1(VALU_DEP_3)
	v_sub_f32_e32 v155, v166, v155
	v_dual_add_f32 v151, v151, v4 :: v_dual_mul_f32 v160, 0x3f3d2fb0, v51
	v_add_f32_e32 v119, v164, v165
	v_mul_f32_e32 v163, 0x3f6eb680, v80
	s_delay_alu instid0(VALU_DEP_3) | instskip(NEXT) | instid1(VALU_DEP_4)
	v_dual_fmac_f32 v140, 0x3ee437d1, v84 :: v_dual_add_f32 v151, v155, v151
	v_sub_f32_e32 v155, v160, v156
	v_mul_f32_e32 v156, 0x3ee437d1, v56
	v_add_f32_e32 v119, v119, v116
	v_add_f32_e32 v116, v161, v120
	s_delay_alu instid0(VALU_DEP_4) | instskip(NEXT) | instid1(VALU_DEP_4)
	v_dual_mul_f32 v120, 0xbf1a4643, v85 :: v_dual_add_f32 v151, v155, v151
	v_dual_sub_f32 v155, v156, v158 :: v_dual_mul_f32 v158, 0xbf7ba420, v61
	v_mul_f32_e32 v156, 0x3dbcf732, v48
	s_delay_alu instid0(VALU_DEP_3) | instskip(NEXT) | instid1(VALU_DEP_3)
	v_add_f32_e32 v120, v162, v120
	v_dual_sub_f32 v152, v158, v152 :: v_dual_add_f32 v151, v155, v151
	s_delay_alu instid0(VALU_DEP_1) | instskip(NEXT) | instid1(VALU_DEP_1)
	v_dual_mul_f32 v158, 0x3dbcf732, v66 :: v_dual_add_f32 v151, v152, v151
	v_dual_sub_f32 v153, v158, v153 :: v_dual_mul_f32 v152, 0xbe8c1d8e, v52
	v_mul_f32_e32 v158, 0x3f3d2fb0, v47
	s_delay_alu instid0(VALU_DEP_2) | instskip(SKIP_2) | instid1(VALU_DEP_4)
	v_add_f32_e32 v151, v153, v151
	v_mul_f32_e32 v153, 0x3f6eb680, v57
	v_mul_f32_e32 v155, 0xbf7ba420, v50
	v_dual_sub_f32 v65, v158, v65 :: v_dual_mul_f32 v158, 0xbf7ba420, v84
	s_delay_alu instid0(VALU_DEP_3) | instskip(NEXT) | instid1(VALU_DEP_3)
	v_dual_add_f32 v146, v146, v153 :: v_dual_add_f32 v143, v143, v156
	v_add_f32_e32 v144, v144, v155
	v_mul_f32_e32 v156, 0x3f6eb680, v47
	v_add_f32_e32 v159, v159, v163
	s_delay_alu instid0(VALU_DEP_4) | instskip(NEXT) | instid1(VALU_DEP_3)
	v_add_f32_e32 v143, v143, v5
	v_sub_f32_e32 v53, v156, v53
	s_delay_alu instid0(VALU_DEP_3) | instskip(SKIP_1) | instid1(VALU_DEP_4)
	v_add_f32_e32 v119, v159, v119
	v_mul_f32_e32 v159, 0x3f6eb680, v84
	v_dual_add_f32 v143, v144, v143 :: v_dual_mul_f32 v144, 0x3f6eb680, v77
	s_delay_alu instid0(VALU_DEP_3) | instskip(SKIP_2) | instid1(VALU_DEP_3)
	v_dual_add_f32 v145, v145, v152 :: v_dual_add_f32 v120, v120, v119
	v_mul_f32_e32 v155, 0x3f6eb680, v48
	v_mul_f32_e32 v152, 0x3f3d2fb0, v48
	v_dual_sub_f32 v144, v144, v154 :: v_dual_add_f32 v143, v145, v143
	v_mul_f32_e32 v145, 0xbf1a4643, v84
	s_delay_alu instid0(VALU_DEP_3) | instskip(NEXT) | instid1(VALU_DEP_3)
	v_dual_mul_f32 v154, 0x3ee437d1, v47 :: v_dual_add_f32 v69, v69, v152
	v_add_f32_e32 v144, v144, v151
	v_mul_f32_e32 v152, 0xbf59a7d5, v85
	s_delay_alu instid0(VALU_DEP_4) | instskip(NEXT) | instid1(VALU_DEP_4)
	v_sub_f32_e32 v145, v145, v157
	v_dual_mul_f32 v157, 0x3dbcf732, v47 :: v_dual_sub_f32 v78, v154, v78
	v_mul_f32_e32 v154, 0x3f3d2fb0, v84
	v_add_f32_e32 v53, v53, v4
	s_delay_alu instid0(VALU_DEP_3) | instskip(NEXT) | instid1(VALU_DEP_4)
	v_dual_add_f32 v127, v127, v152 :: v_dual_sub_f32 v134, v157, v134
	v_dual_mul_f32 v157, 0xbf7ba420, v49 :: v_dual_add_f32 v78, v78, v4
	s_delay_alu instid0(VALU_DEP_4) | instskip(NEXT) | instid1(VALU_DEP_2)
	v_dual_sub_f32 v141, v154, v141 :: v_dual_mul_f32 v152, 0xbf59a7d5, v80
	v_dual_add_f32 v134, v134, v4 :: v_dual_sub_f32 v135, v157, v135
	v_mul_f32_e32 v153, 0x3ee437d1, v48
	v_dual_add_f32 v143, v146, v143 :: v_dual_mul_f32 v154, 0xbf1a4643, v70
	v_mul_f32_e32 v146, 0x3f3d2fb0, v49
	s_delay_alu instid0(VALU_DEP_4) | instskip(NEXT) | instid1(VALU_DEP_4)
	v_dual_add_f32 v134, v135, v134 :: v_dual_mul_f32 v151, 0x3ee437d1, v64
	v_add_f32_e32 v90, v90, v153
	s_delay_alu instid0(VALU_DEP_3) | instskip(NEXT) | instid1(VALU_DEP_2)
	v_sub_f32_e32 v59, v146, v59
	v_dual_add_f32 v147, v147, v151 :: v_dual_add_f32 v90, v90, v5
	v_mul_f32_e32 v151, 0xbf59a7d5, v70
	s_delay_alu instid0(VALU_DEP_3) | instskip(NEXT) | instid1(VALU_DEP_3)
	v_add_f32_e32 v53, v59, v53
	v_add_f32_e32 v143, v147, v143
	s_delay_alu instid0(VALU_DEP_3) | instskip(SKIP_1) | instid1(VALU_DEP_2)
	v_add_f32_e32 v147, v148, v151
	v_mul_f32_e32 v151, 0xbf1a4643, v80
	v_dual_mul_f32 v148, 0x3dbcf732, v50 :: v_dual_add_f32 v143, v147, v143
	s_delay_alu instid0(VALU_DEP_2) | instskip(NEXT) | instid1(VALU_DEP_2)
	v_dual_add_f32 v150, v150, v151 :: v_dual_mul_f32 v151, 0xbf1a4643, v50
	v_dual_add_f32 v81, v81, v148 :: v_dual_mul_f32 v148, 0xbf59a7d5, v77
	v_add_f32_e32 v69, v69, v5
	s_delay_alu instid0(VALU_DEP_3) | instskip(SKIP_1) | instid1(VALU_DEP_1)
	v_add_f32_e32 v143, v150, v143
	v_mul_f32_e32 v150, 0xbe8c1d8e, v51
	v_dual_add_f32 v95, v95, v151 :: v_dual_sub_f32 v130, v150, v130
	v_mul_f32_e32 v150, 0x3f6eb680, v56
	v_add_f32_e32 v119, v145, v144
	s_delay_alu instid0(VALU_DEP_3) | instskip(NEXT) | instid1(VALU_DEP_4)
	v_dual_mul_f32 v145, 0x3dbcf732, v49 :: v_dual_add_f32 v90, v95, v90
	v_add_f32_e32 v130, v130, v134
	s_delay_alu instid0(VALU_DEP_4) | instskip(SKIP_2) | instid1(VALU_DEP_3)
	v_dual_mul_f32 v134, 0xbf7ba420, v52 :: v_dual_sub_f32 v131, v150, v131
	v_mul_f32_e32 v95, 0x3ee437d1, v61
	v_mul_f32_e32 v150, 0xbf7ba420, v51
	v_dual_sub_f32 v71, v145, v71 :: v_dual_add_f32 v102, v102, v134
	s_delay_alu instid0(VALU_DEP_4) | instskip(NEXT) | instid1(VALU_DEP_4)
	v_dual_add_f32 v130, v131, v130 :: v_dual_mul_f32 v131, 0xbe8c1d8e, v57
	v_sub_f32_e32 v95, v95, v132
	s_delay_alu instid0(VALU_DEP_3) | instskip(NEXT) | instid1(VALU_DEP_3)
	v_dual_mul_f32 v147, 0xbf1a4643, v49 :: v_dual_add_f32 v90, v102, v90
	v_dual_mul_f32 v102, 0xbf59a7d5, v66 :: v_dual_add_f32 v121, v121, v131
	s_delay_alu instid0(VALU_DEP_3) | instskip(SKIP_1) | instid1(VALU_DEP_3)
	v_dual_add_f32 v95, v95, v130 :: v_dual_mul_f32 v130, 0x3f3d2fb0, v64
	v_mul_f32_e32 v157, 0x3ee437d1, v51
	v_dual_mul_f32 v135, 0x3ee437d1, v52 :: v_dual_sub_f32 v102, v102, v133
	s_delay_alu instid0(VALU_DEP_4) | instskip(NEXT) | instid1(VALU_DEP_4)
	v_add_f32_e32 v90, v121, v90
	v_dual_add_f32 v122, v122, v130 :: v_dual_mul_f32 v153, 0xbf1a4643, v51
	v_mul_f32_e32 v121, 0xbf1a4643, v77
	v_mul_f32_e32 v133, 0xbf7ba420, v57
	s_delay_alu instid0(VALU_DEP_3)
	v_dual_sub_f32 v87, v147, v87 :: v_dual_add_f32 v90, v122, v90
	v_dual_mul_f32 v122, 0xbe8c1d8e, v61 :: v_dual_add_f32 v95, v102, v95
	v_mul_f32_e32 v102, 0x3f6eb680, v70
	v_mul_f32_e32 v151, 0xbf1a4643, v52
	v_dual_sub_f32 v121, v121, v136 :: v_dual_mul_f32 v136, 0x3f3d2fb0, v85
	v_sub_f32_e32 v92, v150, v92
	s_delay_alu instid0(VALU_DEP_4) | instskip(SKIP_3) | instid1(VALU_DEP_4)
	v_add_f32_e32 v102, v123, v102
	v_mul_f32_e32 v150, 0x3f6eb680, v66
	v_add_f32_e32 v78, v87, v78
	v_dual_add_f32 v136, v149, v136 :: v_dual_mul_f32 v149, 0xbf59a7d5, v61
	v_add_f32_e32 v90, v102, v90
	v_dual_mul_f32 v102, 0xbf59a7d5, v64 :: v_dual_add_f32 v95, v121, v95
	v_dual_mul_f32 v121, 0x3dbcf732, v80 :: v_dual_add_f32 v96, v96, v133
	v_dual_add_f32 v89, v89, v151 :: v_dual_mul_f32 v130, 0xbe8c1d8e, v56
	s_delay_alu instid0(VALU_DEP_2) | instskip(SKIP_3) | instid1(VALU_DEP_4)
	v_dual_mul_f32 v134, 0x3dbcf732, v56 :: v_dual_add_f32 v121, v125, v121
	v_mul_f32_e32 v131, 0xbf7ba420, v56
	v_dual_mul_f32 v123, 0xbe8c1d8e, v64 :: v_dual_add_f32 v78, v92, v78
	v_mul_f32_e32 v92, 0x3ee437d1, v77
	v_dual_add_f32 v90, v121, v90 :: v_dual_sub_f32 v97, v130, v97
	v_mul_f32_e32 v130, 0xbf7ba420, v85
	v_add_f32_e32 v69, v81, v69
	v_sub_f32_e32 v23, v157, v62
	v_dual_mul_f32 v145, 0x3f6eb680, v85 :: v_dual_sub_f32 v22, v134, v67
	v_dual_mul_f32 v133, 0xbf59a7d5, v84 :: v_dual_add_f32 v90, v127, v90
	s_delay_alu instid0(VALU_DEP_4)
	v_add_f32_e32 v69, v89, v69
	v_add_f32_e32 v89, v65, v4
	;; [unrolled: 1-line block ×3, first 2 shown]
	v_dual_mul_f32 v125, 0x3f3d2fb0, v61 :: v_dual_add_f32 v78, v97, v78
	v_mul_f32_e32 v87, 0xbe8c1d8e, v70
	v_mul_f32_e32 v81, 0x3ee437d1, v80
	s_delay_alu instid0(VALU_DEP_4) | instskip(SKIP_4) | instid1(VALU_DEP_4)
	v_dual_add_f32 v71, v71, v89 :: v_dual_add_f32 v22, v22, v23
	v_sub_f32_e32 v83, v153, v83
	v_dual_add_f32 v69, v96, v69 :: v_dual_add_f32 v96, v101, v102
	v_sub_f32_e32 v23, v122, v79
	v_sub_f32_e32 v89, v125, v113
	v_add_f32_e32 v71, v83, v71
	v_add_f32_e32 v87, v104, v87
	;; [unrolled: 1-line block ×3, first 2 shown]
	v_dual_add_f32 v22, v23, v22 :: v_dual_add_f32 v69, v96, v69
	v_add_f32_e32 v4, v167, v4
	v_sub_f32_e32 v83, v131, v91
	v_dual_add_f32 v91, v58, v155 :: v_dual_mul_f32 v144, 0x3f3d2fb0, v50
	s_delay_alu instid0(VALU_DEP_4) | instskip(SKIP_1) | instid1(VALU_DEP_4)
	v_add_f32_e32 v69, v87, v69
	v_sub_f32_e32 v87, v133, v118
	v_add_f32_e32 v71, v83, v71
	s_delay_alu instid0(VALU_DEP_4) | instskip(NEXT) | instid1(VALU_DEP_4)
	v_dual_mul_f32 v121, 0xbe8c1d8e, v66 :: v_dual_add_f32 v60, v60, v144
	v_dual_add_f32 v69, v81, v69 :: v_dual_add_f32 v4, v170, v4
	v_add_f32_e32 v81, v112, v145
	v_mul_f32_e32 v147, 0xbf1a4643, v66
	v_mul_f32_e32 v132, 0x3dbcf732, v57
	v_add_f32_e32 v64, v141, v95
	v_add_f32_e32 v4, v174, v4
	s_delay_alu instid0(VALU_DEP_4) | instskip(SKIP_1) | instid1(VALU_DEP_3)
	v_dual_add_f32 v58, v81, v69 :: v_dual_sub_f32 v23, v147, v86
	v_dual_mul_f32 v151, 0x3dbcf732, v77 :: v_dual_add_f32 v78, v89, v78
	v_add_f32_e32 v4, v169, v4
	s_delay_alu instid0(VALU_DEP_3) | instskip(SKIP_1) | instid1(VALU_DEP_3)
	v_dual_add_f32 v22, v23, v22 :: v_dual_sub_f32 v23, v148, v93
	v_sub_f32_e32 v83, v149, v100
	v_add_f32_e32 v4, v126, v4
	s_delay_alu instid0(VALU_DEP_3) | instskip(NEXT) | instid1(VALU_DEP_3)
	v_add_f32_e32 v22, v23, v22
	v_add_f32_e32 v71, v83, v71
	v_sub_f32_e32 v23, v158, v98
	v_sub_f32_e32 v83, v121, v103
	s_delay_alu instid0(VALU_DEP_1) | instskip(SKIP_1) | instid1(VALU_DEP_1)
	v_add_f32_e32 v71, v83, v71
	v_sub_f32_e32 v83, v92, v110
	v_add_f32_e32 v69, v83, v71
	v_add_f32_e32 v71, v91, v5
	s_delay_alu instid0(VALU_DEP_1) | instskip(SKIP_1) | instid1(VALU_DEP_1)
	v_add_f32_e32 v21, v60, v71
	v_add_f32_e32 v60, v63, v135
	;; [unrolled: 1-line block ×4, first 2 shown]
	s_delay_alu instid0(VALU_DEP_1) | instskip(SKIP_1) | instid1(VALU_DEP_1)
	v_dual_add_f32 v65, v136, v143 :: v_dual_add_f32 v20, v21, v20
	v_add_f32_e32 v21, v82, v123
	v_dual_add_f32 v20, v21, v20 :: v_dual_add_f32 v21, v88, v154
	s_delay_alu instid0(VALU_DEP_1) | instskip(SKIP_1) | instid1(VALU_DEP_1)
	v_add_f32_e32 v20, v21, v20
	v_add_f32_e32 v21, v94, v152
	v_dual_sub_f32 v89, v150, v114 :: v_dual_add_f32 v20, v21, v20
	v_add_f32_e32 v21, v99, v130
	s_delay_alu instid0(VALU_DEP_2) | instskip(NEXT) | instid1(VALU_DEP_2)
	v_dual_add_f32 v78, v89, v78 :: v_dual_sub_f32 v89, v151, v115
	v_dual_add_f32 v7, v21, v20 :: v_dual_add_f32 v20, v26, v6
	v_fma_f32 v21, 0xbf1a4643, v48, -v172
	s_delay_alu instid0(VALU_DEP_3) | instskip(SKIP_1) | instid1(VALU_DEP_3)
	v_add_f32_e32 v78, v89, v78
	v_add_f32_e32 v6, v23, v22
	v_dual_add_f32 v16, v16, v20 :: v_dual_add_f32 v5, v21, v5
	s_delay_alu instid0(VALU_DEP_1) | instskip(NEXT) | instid1(VALU_DEP_1)
	v_dual_add_f32 v16, v18, v16 :: v_dual_add_f32 v5, v19, v5
	v_dual_add_f32 v12, v12, v16 :: v_dual_add_f32 v89, v87, v78
	s_delay_alu instid0(VALU_DEP_2) | instskip(SKIP_1) | instid1(VALU_DEP_2)
	v_add_f32_e32 v5, v17, v5
	v_sub_f32_e32 v78, v159, v109
	v_dual_add_f32 v12, v14, v12 :: v_dual_add_f32 v5, v15, v5
	s_delay_alu instid0(VALU_DEP_1) | instskip(SKIP_1) | instid1(VALU_DEP_3)
	v_dual_add_f32 v57, v78, v69 :: v_dual_add_f32 v8, v8, v12
	v_fma_f32 v12, 0x3f3d2fb0, v70, -v137
	v_add_f32_e32 v11, v13, v5
	s_delay_alu instid0(VALU_DEP_3) | instskip(SKIP_1) | instid1(VALU_DEP_3)
	v_dual_add_f32 v5, v37, v9 :: v_dual_add_f32 v8, v10, v8
	v_mul_lo_u16 v10, v107, 17
	v_add_f32_e32 v9, v12, v11
	v_fma_f32 v11, 0xbf7ba420, v80, -v139
	v_add_f32_e32 v12, v129, v4
	v_add_f32_e32 v4, v36, v8
	v_and_b32_e32 v8, 0xffff, v10
	v_fma_f32 v10, 0x3ee437d1, v85, -v142
	v_add_f32_e32 v9, v11, v9
	v_add_f32_e32 v11, v138, v12
	s_delay_alu instid0(VALU_DEP_4) | instskip(NEXT) | instid1(VALU_DEP_2)
	v_add_lshl_u32 v12, v46, v8, 3
	v_dual_add_f32 v9, v10, v9 :: v_dual_add_f32 v8, v140, v11
	ds_store_2addr_b64 v12, v[4:5], v[6:7] offset1:1
	ds_store_2addr_b64 v12, v[57:58], v[89:90] offset0:2 offset1:3
	ds_store_2addr_b64 v12, v[64:65], v[119:120] offset0:4 offset1:5
	;; [unrolled: 1-line block ×7, first 2 shown]
	ds_store_b64 v12, v[2:3] offset:128
.LBB0_7:
	s_wait_alu 0xfffe
	s_or_b32 exec_lo, exec_lo, s0
	v_and_b32_e32 v4, 0xff, v107
	v_add_nc_u16 v47, v107, 0x66
	v_add_co_u32 v48, null, 0xcc, v107
	s_load_b128 s[4:7], s[4:5], 0x0
	s_delay_alu instid0(VALU_DEP_3) | instskip(NEXT) | instid1(VALU_DEP_3)
	v_mul_lo_u16 v4, 0xf1, v4
	v_and_b32_e32 v40, 0xff, v47
	global_wb scope:SCOPE_SE
	s_wait_dscnt 0x0
	s_wait_kmcnt 0x0
	s_barrier_signal -1
	s_barrier_wait -1
	v_lshrrev_b16 v44, 12, v4
	v_add_co_u32 v4, null, 0x132, v107
	v_mul_lo_u16 v5, 0xf1, v40
	global_inv scope:SCOPE_SE
	v_mul_lo_u16 v6, v44, 17
	v_and_b32_e32 v7, 0xffff, v4
	v_add_lshl_u32 v109, v46, v107, 3
	v_lshrrev_b16 v45, 12, v5
	v_subrev_nc_u32_e32 v24, 51, v107
	v_sub_nc_u16 v5, v107, v6
	v_mul_u32_u24_e32 v6, 0xf0f1, v7
	v_cmp_gt_u16_e64 s0, 51, v107
	v_mul_lo_u16 v7, v45, 17
	v_lshl_add_u32 v110, v107, 3, v108
	v_and_b32_e32 v50, 0xff, v5
	v_lshrrev_b32_e32 v51, 20, v6
	s_wait_alu 0xf1ff
	v_cndmask_b32_e64 v57, v24, v107, s0
	v_sub_nc_u16 v6, v47, v7
	v_lshl_add_u32 v115, v107, 3, v108
	v_lshlrev_b32_e32 v7, 4, v50
	v_add_nc_u32_e32 v96, 0x1400, v110
	v_mul_i32_i24_e32 v61, 24, v57
	v_and_b32_e32 v53, 0xff, v6
	v_mul_hi_i32_i24_e32 v60, 24, v57
	global_load_b128 v[16:19], v7, s[2:3]
	v_and_b32_e32 v41, 0xffff, v48
	s_delay_alu instid0(VALU_DEP_1) | instskip(SKIP_1) | instid1(VALU_DEP_2)
	v_mul_u32_u24_e32 v8, 0xf0f1, v41
	v_mul_u32_u24_e32 v59, 0xa0a1, v41
	v_lshrrev_b32_e32 v49, 20, v8
	v_mul_lo_u16 v8, v51, 17
	s_delay_alu instid0(VALU_DEP_3) | instskip(NEXT) | instid1(VALU_DEP_3)
	v_lshrrev_b32_e32 v59, 21, v59
	v_mul_lo_u16 v5, v49, 17
	s_delay_alu instid0(VALU_DEP_3) | instskip(NEXT) | instid1(VALU_DEP_3)
	v_sub_nc_u16 v56, v4, v8
	v_mul_lo_u16 v70, v59, 51
	s_delay_alu instid0(VALU_DEP_3) | instskip(SKIP_1) | instid1(VALU_DEP_4)
	v_sub_nc_u16 v52, v48, v5
	v_lshlrev_b32_e32 v5, 4, v53
	v_lshlrev_b16 v6, 1, v56
	s_delay_alu instid0(VALU_DEP_3)
	v_lshlrev_b16 v4, 1, v52
	global_load_b128 v[12:15], v5, s[2:3]
	v_and_b32_e32 v5, 0xffff, v6
	v_add_nc_u32_e32 v64, 0x800, v109
	v_add_nc_u32_e32 v65, 0x1800, v109
	v_and_b32_e32 v4, 0xffff, v4
	v_mad_u16 v49, v49, 51, v52
	v_lshlrev_b32_e32 v5, 3, v5
	s_delay_alu instid0(VALU_DEP_3)
	v_lshlrev_b32_e32 v4, 3, v4
	s_clause 0x1
	global_load_b128 v[8:11], v4, s[2:3]
	global_load_b128 v[4:7], v5, s[2:3]
	v_add_nc_u32_e32 v66, 0x400, v109
	ds_load_2addr_b64 v[20:23], v109 offset1:102
	v_add_nc_u32_e32 v67, 0x1000, v109
	ds_load_2addr_b64 v[24:27], v64 offset0:152 offset1:254
	ds_load_2addr_b64 v[28:31], v65 offset0:48 offset1:150
	;; [unrolled: 1-line block ×4, first 2 shown]
	v_and_b32_e32 v44, 0xffff, v44
	v_and_b32_e32 v63, 0xffff, v45
	;; [unrolled: 1-line block ×3, first 2 shown]
	v_add_nc_u32_e32 v68, 0x1c00, v109
	s_delay_alu instid0(VALU_DEP_4)
	v_mul_u32_u24_e32 v62, 51, v44
	v_add_co_u32 v44, s0, s2, v61
	s_wait_alu 0xf1ff
	v_add_co_ci_u32_e64 v45, s0, s3, v60, s0
	v_mul_u32_u24_e32 v60, 51, v63
	v_sub_nc_u16 v61, v48, v70
	v_add_lshl_u32 v112, v46, v49, 3
	s_delay_alu instid0(VALU_DEP_3) | instskip(NEXT) | instid1(VALU_DEP_3)
	v_add_nc_u32_e32 v53, v60, v53
	v_mul_lo_u16 v52, v61, 24
	s_delay_alu instid0(VALU_DEP_2) | instskip(SKIP_4) | instid1(VALU_DEP_2)
	v_add_lshl_u32 v113, v46, v53, 3
	s_wait_loadcnt_dscnt 0x302
	v_dual_mul_f32 v53, v29, v19 :: v_dual_add_nc_u32 v48, v62, v50
	v_mad_u16 v50, v51, 51, v56
	v_dual_mul_f32 v49, v25, v17 :: v_dual_mul_f32 v56, v28, v19
	v_and_b32_e32 v50, 0xffff, v50
	s_delay_alu instid0(VALU_DEP_2) | instskip(NEXT) | instid1(VALU_DEP_2)
	v_fmac_f32_e32 v56, v29, v18
	v_add_lshl_u32 v111, v46, v50, 3
	v_mul_f32_e32 v50, v24, v17
	v_fma_f32 v24, v24, v16, -v49
	s_delay_alu instid0(VALU_DEP_2) | instskip(SKIP_2) | instid1(VALU_DEP_4)
	v_fmac_f32_e32 v50, v25, v16
	v_fma_f32 v25, v28, v18, -v53
	v_and_b32_e32 v52, 0xffff, v52
	v_add_f32_e32 v70, v20, v24
	s_delay_alu instid0(VALU_DEP_3)
	v_dual_add_f32 v78, v21, v50 :: v_dual_add_f32 v71, v24, v25
	s_wait_loadcnt 0x2
	v_mul_f32_e32 v49, v26, v13
	v_mul_lo_u16 v58, 0xa1, v40
	ds_load_2addr_b64 v[40:43], v68 offset0:124 offset1:226
	v_mul_f32_e32 v28, v27, v13
	v_mul_f32_e32 v53, v31, v15
	;; [unrolled: 1-line block ×3, first 2 shown]
	v_lshrrev_b16 v58, 13, v58
	v_fmac_f32_e32 v49, v27, v12
	v_fma_f32 v26, v26, v12, -v28
	v_fma_f32 v28, v30, v14, -v53
	v_fmac_f32_e32 v60, v31, v14
	v_mul_lo_u16 v69, v58, 51
	v_fma_f32 v20, -0.5, v71, v20
	s_wait_loadcnt_dscnt 0x101
	v_mul_f32_e32 v27, v37, v9
	v_mul_f32_e32 v30, v36, v9
	s_wait_loadcnt 0x0
	v_mul_f32_e32 v31, v39, v5
	v_sub_nc_u16 v47, v47, v69
	v_mul_f32_e32 v62, v38, v5
	v_fma_f32 v36, v36, v8, -v27
	v_dual_fmac_f32 v30, v37, v8 :: v_dual_sub_f32 v79, v24, v25
	s_delay_alu instid0(VALU_DEP_4)
	v_and_b32_e32 v51, 0xff, v47
	s_wait_dscnt 0x0
	v_mul_f32_e32 v29, v41, v11
	v_mul_f32_e32 v53, v40, v11
	;; [unrolled: 1-line block ×4, first 2 shown]
	v_fma_f32 v31, v38, v4, -v31
	v_fma_f32 v37, v40, v10, -v29
	v_sub_f32_e32 v77, v50, v56
	v_dual_add_f32 v50, v50, v56 :: v_dual_fmac_f32 v53, v41, v10
	v_add_f32_e32 v24, v70, v25
	v_fmac_f32_e32 v62, v39, v4
	v_fma_f32 v38, v42, v6, -v63
	v_add_f32_e32 v25, v78, v56
	v_dual_add_f32 v29, v22, v26 :: v_dual_add_f32 v42, v49, v60
	v_add_f32_e32 v41, v23, v49
	v_dual_sub_f32 v56, v36, v37 :: v_dual_add_f32 v39, v26, v28
	v_fma_f32 v21, -0.5, v50, v21
	v_dual_fmac_f32 v69, v43, v6 :: v_dual_sub_f32 v40, v49, v60
	v_dual_sub_f32 v43, v26, v28 :: v_dual_fmamk_f32 v26, v77, 0x3f5db3d7, v20
	v_fmac_f32_e32 v20, 0xbf5db3d7, v77
	v_add_f32_e32 v28, v29, v28
	v_fma_f32 v22, -0.5, v39, v22
	v_dual_add_f32 v29, v41, v60 :: v_dual_add_f32 v60, v34, v31
	v_add_f32_e32 v41, v36, v37
	v_fmamk_f32 v27, v79, 0xbf5db3d7, v21
	v_dual_fmac_f32 v21, 0x3f5db3d7, v79 :: v_dual_add_f32 v50, v30, v53
	v_add_lshl_u32 v114, v46, v48, 3
	v_dual_fmac_f32 v23, -0.5, v42 :: v_dual_sub_f32 v70, v62, v69
	v_dual_add_f32 v39, v32, v36 :: v_dual_sub_f32 v42, v30, v53
	v_dual_add_f32 v71, v35, v62 :: v_dual_add_f32 v62, v62, v69
	s_delay_alu instid0(VALU_DEP_2)
	v_dual_add_f32 v49, v33, v30 :: v_dual_add_f32 v36, v39, v37
	v_fmamk_f32 v30, v40, 0x3f5db3d7, v22
	v_fmac_f32_e32 v22, 0xbf5db3d7, v40
	v_fma_f32 v32, -0.5, v41, v32
	v_add_f32_e32 v63, v31, v38
	v_fma_f32 v33, -0.5, v50, v33
	global_wb scope:SCOPE_SE
	s_barrier_signal -1
	s_barrier_wait -1
	global_inv scope:SCOPE_SE
	v_sub_f32_e32 v77, v31, v38
	v_fmac_f32_e32 v35, -0.5, v62
	ds_store_2addr_b64 v114, v[24:25], v[26:27] offset1:17
	ds_store_b64 v114, v[20:21] offset:272
	v_fmamk_f32 v20, v42, 0x3f5db3d7, v32
	v_fma_f32 v34, -0.5, v63, v34
	v_dual_fmamk_f32 v31, v43, 0xbf5db3d7, v23 :: v_dual_add_f32 v38, v60, v38
	v_fmac_f32_e32 v23, 0x3f5db3d7, v43
	v_dual_add_f32 v37, v49, v53 :: v_dual_fmac_f32 v32, 0xbf5db3d7, v42
	v_fmamk_f32 v21, v56, 0xbf5db3d7, v33
	v_mad_co_u64_u32 v[47:48], null, v51, 24, s[2:3]
	v_dual_fmac_f32 v33, 0x3f5db3d7, v56 :: v_dual_fmamk_f32 v24, v70, 0x3f5db3d7, v34
	v_dual_add_f32 v39, v71, v69 :: v_dual_fmac_f32 v34, 0xbf5db3d7, v70
	v_fmamk_f32 v25, v77, 0xbf5db3d7, v35
	v_fmac_f32_e32 v35, 0x3f5db3d7, v77
	ds_store_2addr_b64 v113, v[28:29], v[30:31] offset1:17
	ds_store_b64 v113, v[22:23] offset:272
	ds_store_2addr_b64 v112, v[36:37], v[20:21] offset1:17
	ds_store_b64 v112, v[32:33] offset:272
	;; [unrolled: 2-line block ×3, first 2 shown]
	v_add_co_u32 v32, s0, s2, v52
	s_wait_alu 0xf1ff
	v_add_co_ci_u32_e64 v33, null, s3, 0, s0
	global_wb scope:SCOPE_SE
	s_wait_dscnt 0x0
	s_barrier_signal -1
	s_barrier_wait -1
	global_inv scope:SCOPE_SE
	s_clause 0x5
	global_load_b128 v[28:31], v[44:45], off offset:272
	global_load_b64 v[81:82], v[44:45], off offset:288
	global_load_b128 v[24:27], v[47:48], off offset:272
	global_load_b64 v[79:80], v[47:48], off offset:288
	;; [unrolled: 2-line block ×3, first 2 shown]
	v_cmp_lt_u16_e64 s0, 50, v107
	ds_load_2addr_b64 v[32:35], v66 offset0:76 offset1:178
	v_and_b32_e32 v36, 0xffff, v58
	ds_load_2addr_b64 v[40:43], v65 offset0:48 offset1:150
	v_mad_u16 v52, 0xcc, v59, v61
	s_wait_alu 0xf1ff
	v_cndmask_b32_e64 v44, 0, 0xcc, s0
	ds_load_2addr_b64 v[47:50], v64 offset0:152 offset1:254
	v_mul_u32_u24_e32 v45, 0xcc, v36
	ds_load_2addr_b64 v[36:39], v67 offset0:100 offset1:202
	ds_load_2addr_b64 v[60:63], v109 offset1:102
	v_add_nc_u32_e32 v44, v57, v44
	ds_load_2addr_b64 v[56:59], v68 offset0:124 offset1:226
	v_and_b32_e32 v53, 0xffff, v52
	v_add_nc_u32_e32 v45, v45, v51
	v_mad_co_u64_u32 v[51:52], null, v107, 40, s[2:3]
	v_add_lshl_u32 v118, v46, v44, 3
	global_wb scope:SCOPE_SE
	s_wait_loadcnt_dscnt 0x0
	s_barrier_signal -1
	s_barrier_wait -1
	global_inv scope:SCOPE_SE
	v_mul_f32_e32 v44, v35, v29
	v_mul_f32_e32 v70, v42, v82
	;; [unrolled: 1-line block ×4, first 2 shown]
	v_add_lshl_u32 v116, v46, v53, 3
	s_delay_alu instid0(VALU_DEP_4) | instskip(SKIP_3) | instid1(VALU_DEP_4)
	v_dual_mul_f32 v53, v36, v31 :: v_dual_fmac_f32 v70, v43, v81
	v_add_lshl_u32 v117, v46, v45, 3
	v_dual_mul_f32 v45, v34, v29 :: v_dual_mul_f32 v46, v37, v31
	v_mul_f32_e32 v84, v39, v27
	v_dual_mul_f32 v88, v50, v21 :: v_dual_fmac_f32 v53, v37, v30
	v_mul_f32_e32 v69, v43, v82
	v_fma_f32 v34, v34, v28, -v44
	v_fmac_f32_e32 v45, v35, v28
	v_fma_f32 v35, v36, v30, -v46
	v_sub_f32_e32 v44, v61, v53
	v_fma_f32 v36, v42, v81, -v69
	v_fma_f32 v42, v49, v20, -v88
	v_mul_f32_e32 v91, v40, v23
	v_fma_f32 v40, v40, v22, -v90
	v_mul_f32_e32 v85, v38, v27
	;; [unrolled: 2-line block ×3, first 2 shown]
	v_dual_mul_f32 v71, v48, v25 :: v_dual_mul_f32 v86, v57, v80
	s_delay_alu instid0(VALU_DEP_3) | instskip(NEXT) | instid1(VALU_DEP_3)
	v_dual_sub_f32 v43, v60, v35 :: v_dual_sub_f32 v46, v62, v38
	v_fmac_f32_e32 v83, v48, v24
	v_sub_f32_e32 v48, v32, v40
	v_dual_sub_f32 v35, v34, v36 :: v_dual_sub_f32 v36, v45, v70
	v_fma_f32 v37, v47, v24, -v71
	v_fma_f32 v53, v61, 2.0, -v44
	s_delay_alu instid0(VALU_DEP_4)
	v_fma_f32 v61, v32, 2.0, -v48
	v_fmac_f32_e32 v85, v39, v26
	v_fma_f32 v39, v56, v79, -v86
	v_mul_f32_e32 v87, v56, v80
	v_fmac_f32_e32 v91, v41, v22
	v_fma_f32 v41, v58, v77, -v92
	v_mul_f32_e32 v89, v49, v21
	v_dual_sub_f32 v38, v37, v39 :: v_dual_mul_f32 v93, v58, v78
	v_dual_fmac_f32 v87, v57, v79 :: v_dual_add_nc_u32 v90, 0xc00, v110
	v_sub_f32_e32 v47, v63, v85
	v_sub_f32_e32 v40, v42, v41
	v_fma_f32 v58, v62, 2.0, -v46
	v_fma_f32 v57, v37, 2.0, -v38
	v_fmac_f32_e32 v93, v59, v77
	v_fma_f32 v56, v34, 2.0, -v35
	v_sub_f32_e32 v34, v43, v36
	v_fmac_f32_e32 v89, v50, v20
	v_fma_f32 v59, v63, 2.0, -v47
	v_fma_f32 v63, v42, 2.0, -v40
	v_dual_sub_f32 v42, v58, v57 :: v_dual_sub_f32 v39, v83, v87
	v_sub_f32_e32 v49, v33, v91
	v_sub_f32_e32 v41, v89, v93
	v_fma_f32 v50, v60, 2.0, -v43
	v_fma_f32 v45, v45, 2.0, -v36
	;; [unrolled: 1-line block ×3, first 2 shown]
	v_add_f32_e32 v35, v44, v35
	v_dual_sub_f32 v36, v46, v39 :: v_dual_add_f32 v37, v47, v38
	v_fma_f32 v62, v33, 2.0, -v49
	v_fma_f32 v69, v89, 2.0, -v41
	v_dual_sub_f32 v38, v50, v56 :: v_dual_sub_f32 v39, v53, v45
	v_add_f32_e32 v33, v49, v40
	v_fma_f32 v40, v43, 2.0, -v34
	v_dual_sub_f32 v43, v59, v60 :: v_dual_sub_f32 v32, v48, v41
	v_fma_f32 v41, v44, 2.0, -v35
	v_fma_f32 v44, v46, 2.0, -v36
	;; [unrolled: 1-line block ×3, first 2 shown]
	v_dual_sub_f32 v46, v61, v63 :: v_dual_sub_f32 v47, v62, v69
	v_fma_f32 v56, v50, 2.0, -v38
	v_fma_f32 v57, v53, 2.0, -v39
	;; [unrolled: 1-line block ×8, first 2 shown]
	ds_store_2addr_b64 v118, v[38:39], v[34:35] offset0:102 offset1:153
	ds_store_2addr_b64 v118, v[56:57], v[40:41] offset1:51
	ds_store_2addr_b64 v117, v[58:59], v[44:45] offset1:51
	ds_store_2addr_b64 v117, v[42:43], v[36:37] offset0:102 offset1:153
	ds_store_2addr_b64 v116, v[60:61], v[48:49] offset1:51
	ds_store_2addr_b64 v116, v[46:47], v[32:33] offset0:102 offset1:153
	global_wb scope:SCOPE_SE
	s_wait_dscnt 0x0
	s_barrier_signal -1
	s_barrier_wait -1
	global_inv scope:SCOPE_SE
	s_clause 0x5
	global_load_b128 v[44:47], v[51:52], off offset:1496
	global_load_b128 v[36:39], v[51:52], off offset:1512
	global_load_b64 v[85:86], v[51:52], off offset:1528
	global_load_b128 v[40:43], v[51:52], off offset:5576
	global_load_b128 v[32:35], v[51:52], off offset:5592
	global_load_b64 v[83:84], v[51:52], off offset:5608
	ds_load_2addr_b64 v[48:51], v66 offset0:76 offset1:178
	ds_load_2addr_b64 v[56:59], v64 offset0:152 offset1:254
	;; [unrolled: 1-line block ×5, first 2 shown]
	ds_load_2addr_b64 v[92:95], v109 offset1:102
	s_wait_loadcnt_dscnt 0x505
	v_mul_f32_e32 v52, v49, v45
	s_wait_dscnt 0x4
	v_mul_f32_e32 v88, v56, v47
	s_wait_loadcnt_dscnt 0x403
	v_mul_f32_e32 v98, v60, v37
	s_wait_dscnt 0x2
	v_mul_f32_e32 v100, v64, v39
	s_wait_loadcnt 0x1
	v_mul_f32_e32 v124, v66, v35
	v_mul_f32_e32 v87, v57, v47
	;; [unrolled: 1-line block ×3, first 2 shown]
	s_wait_dscnt 0x1
	v_mul_f32_e32 v102, v68, v86
	v_fmac_f32_e32 v100, v65, v38
	v_mul_f32_e32 v122, v62, v33
	s_wait_loadcnt 0x0
	v_dual_mul_f32 v126, v70, v84 :: v_dual_mul_f32 v97, v61, v37
	v_fma_f32 v52, v48, v44, -v52
	v_fmac_f32_e32 v124, v67, v34
	v_fma_f32 v48, v56, v46, -v87
	s_delay_alu instid0(VALU_DEP_4)
	v_fmac_f32_e32 v126, v71, v83
	v_mul_f32_e32 v99, v65, v39
	v_dual_fmac_f32 v102, v69, v85 :: v_dual_add_nc_u32 v89, 0x800, v110
	v_dual_fmac_f32 v122, v63, v32 :: v_dual_add_nc_u32 v91, 0x1800, v110
	v_mul_f32_e32 v104, v50, v41
	v_dual_mul_f32 v120, v58, v43 :: v_dual_mul_f32 v125, v71, v84
	v_fmac_f32_e32 v53, v49, v44
	v_dual_fmac_f32 v88, v57, v46 :: v_dual_mul_f32 v103, v51, v41
	v_fma_f32 v49, v60, v36, -v97
	v_dual_mul_f32 v119, v59, v43 :: v_dual_fmac_f32 v98, v61, v36
	v_mul_f32_e32 v121, v63, v33
	v_mul_f32_e32 v123, v67, v35
	v_fma_f32 v56, v64, v38, -v99
	v_dual_mul_f32 v101, v69, v86 :: v_dual_fmac_f32 v104, v51, v40
	v_fmac_f32_e32 v120, v59, v42
	v_fma_f32 v60, v70, v83, -v125
	s_wait_dscnt 0x0
	v_add_f32_e32 v64, v93, v88
	v_fma_f32 v50, v50, v40, -v103
	v_dual_add_f32 v61, v92, v48 :: v_dual_add_f32 v70, v98, v102
	v_fma_f32 v59, v66, v34, -v123
	v_add_f32_e32 v66, v52, v49
	v_fma_f32 v51, v58, v42, -v119
	v_fma_f32 v58, v62, v32, -v121
	v_add_f32_e32 v62, v48, v56
	v_sub_f32_e32 v48, v48, v56
	v_fma_f32 v57, v68, v85, -v101
	v_add_f32_e32 v87, v51, v59
	v_add_f32_e32 v101, v58, v60
	v_sub_f32_e32 v68, v98, v102
	v_add_f32_e32 v99, v50, v58
	v_add_f32_e32 v67, v49, v57
	v_dual_sub_f32 v49, v49, v57 :: v_dual_sub_f32 v58, v58, v60
	v_dual_fmac_f32 v50, -0.5, v101 :: v_dual_add_f32 v71, v94, v51
	v_add_f32_e32 v56, v61, v56
	v_fma_f32 v61, -0.5, v62, v92
	v_add_f32_e32 v62, v64, v100
	v_dual_sub_f32 v97, v120, v124 :: v_dual_fmac_f32 v52, -0.5, v67
	v_dual_add_f32 v69, v53, v98 :: v_dual_add_f32 v98, v120, v124
	v_fma_f32 v92, -0.5, v87, v94
	v_add_f32_e32 v65, v88, v100
	v_fmac_f32_e32 v53, -0.5, v70
	v_sub_f32_e32 v63, v88, v100
	v_add_f32_e32 v88, v95, v120
	v_dual_add_f32 v120, v122, v126 :: v_dual_sub_f32 v51, v51, v59
	v_add_f32_e32 v57, v66, v57
	v_dual_fmac_f32 v95, -0.5, v98 :: v_dual_fmamk_f32 v98, v97, 0x3f5db3d7, v92
	v_fma_f32 v64, -0.5, v65, v93
	v_add_f32_e32 v119, v104, v122
	v_dual_add_f32 v65, v69, v102 :: v_dual_fmac_f32 v104, -0.5, v120
	v_dual_sub_f32 v103, v122, v126 :: v_dual_add_f32 v60, v99, v60
	v_dual_add_f32 v59, v71, v59 :: v_dual_add_f32 v66, v88, v124
	v_fmamk_f32 v69, v68, 0x3f5db3d7, v52
	v_dual_fmac_f32 v52, 0xbf5db3d7, v68 :: v_dual_add_f32 v87, v56, v57
	v_sub_f32_e32 v56, v56, v57
	v_add_f32_e32 v88, v62, v65
	v_fmac_f32_e32 v92, 0xbf5db3d7, v97
	v_fmamk_f32 v68, v49, 0xbf5db3d7, v53
	v_fmamk_f32 v97, v51, 0xbf5db3d7, v95
	v_fmac_f32_e32 v95, 0x3f5db3d7, v51
	v_fmamk_f32 v51, v103, 0x3f5db3d7, v50
	v_fmac_f32_e32 v50, 0xbf5db3d7, v103
	v_fmamk_f32 v93, v63, 0x3f5db3d7, v61
	v_fmamk_f32 v94, v48, 0xbf5db3d7, v64
	v_dual_fmac_f32 v64, 0x3f5db3d7, v48 :: v_dual_add_f32 v67, v119, v126
	s_delay_alu instid0(VALU_DEP_4) | instskip(SKIP_4) | instid1(VALU_DEP_3)
	v_dual_mul_f32 v100, -0.5, v50 :: v_dual_sub_f32 v57, v62, v65
	v_fmamk_f32 v65, v58, 0xbf5db3d7, v104
	v_fmac_f32_e32 v104, 0x3f5db3d7, v58
	v_dual_fmac_f32 v61, 0xbf5db3d7, v63 :: v_dual_add_f32 v62, v59, v60
	v_dual_fmac_f32 v53, 0x3f5db3d7, v49 :: v_dual_sub_f32 v48, v59, v60
	v_mul_f32_e32 v102, -0.5, v104
	v_mul_f32_e32 v58, 0x3f5db3d7, v68
	v_mul_f32_e32 v59, -0.5, v52
	v_dual_add_f32 v63, v66, v67 :: v_dual_fmac_f32 v100, 0x3f5db3d7, v104
	s_delay_alu instid0(VALU_DEP_4) | instskip(NEXT) | instid1(VALU_DEP_4)
	v_fmac_f32_e32 v102, 0xbf5db3d7, v50
	v_dual_fmac_f32 v58, 0.5, v69 :: v_dual_sub_f32 v49, v66, v67
	v_mul_f32_e32 v66, 0xbf5db3d7, v69
	v_fmac_f32_e32 v59, 0x3f5db3d7, v53
	v_mul_f32_e32 v67, -0.5, v53
	s_delay_alu instid0(VALU_DEP_3) | instskip(NEXT) | instid1(VALU_DEP_3)
	v_dual_sub_f32 v53, v95, v102 :: v_dual_fmac_f32 v66, 0.5, v68
	v_sub_f32_e32 v60, v61, v59
	v_dual_add_f32 v68, v93, v58 :: v_dual_mul_f32 v101, 0xbf5db3d7, v51
	v_dual_add_f32 v70, v61, v59 :: v_dual_mul_f32 v99, 0x3f5db3d7, v65
	v_fmac_f32_e32 v67, 0xbf5db3d7, v52
	v_add_f32_e32 v69, v94, v66
	v_dual_sub_f32 v59, v94, v66 :: v_dual_add_f32 v66, v92, v100
	s_delay_alu instid0(VALU_DEP_4) | instskip(SKIP_3) | instid1(VALU_DEP_3)
	v_dual_fmac_f32 v99, 0.5, v51 :: v_dual_sub_f32 v52, v92, v100
	v_fmac_f32_e32 v101, 0.5, v65
	v_dual_add_f32 v71, v64, v67 :: v_dual_sub_f32 v58, v93, v58
	v_sub_f32_e32 v61, v64, v67
	v_dual_add_f32 v64, v98, v99 :: v_dual_add_f32 v65, v97, v101
	v_dual_add_f32 v67, v95, v102 :: v_dual_sub_f32 v50, v98, v99
	v_sub_f32_e32 v51, v97, v101
	ds_store_b64 v115, v[87:88]
	ds_store_2addr_b64 v110, v[62:63], v[68:69] offset0:102 offset1:204
	ds_store_2addr_b64 v89, v[64:65], v[70:71] offset0:50 offset1:152
	;; [unrolled: 1-line block ×5, first 2 shown]
	ds_store_b64 v110, v[52:53] offset:8976
	global_wb scope:SCOPE_SE
	s_wait_dscnt 0x0
	s_barrier_signal -1
	s_barrier_wait -1
	global_inv scope:SCOPE_SE
	s_and_saveexec_b32 s2, vcc_lo
	s_cbranch_execz .LBB0_9
; %bb.8:
	global_load_b64 v[92:93], v106, s[12:13] offset:9792
	s_add_nc_u64 s[0:1], s[12:13], 0x2640
	s_clause 0xf
	global_load_b64 v[139:140], v106, s[0:1] offset:576
	global_load_b64 v[141:142], v106, s[0:1] offset:1152
	;; [unrolled: 1-line block ×16, first 2 shown]
	ds_load_b64 v[94:95], v115
	v_add_nc_u32_e32 v172, 0x400, v110
	v_add_nc_u32_e32 v173, 0x1000, v110
	;; [unrolled: 1-line block ×3, first 2 shown]
	s_wait_loadcnt_dscnt 0x1000
	v_mul_f32_e32 v96, v95, v93
	v_mul_f32_e32 v97, v94, v93
	s_delay_alu instid0(VALU_DEP_2) | instskip(NEXT) | instid1(VALU_DEP_2)
	v_fma_f32 v96, v94, v92, -v96
	v_fmac_f32_e32 v97, v95, v92
	ds_store_b64 v115, v[96:97]
	ds_load_2addr_b64 v[92:95], v110 offset0:72 offset1:144
	ds_load_2addr_b64 v[96:99], v172 offset0:88 offset1:160
	;; [unrolled: 1-line block ×8, first 2 shown]
	s_wait_loadcnt_dscnt 0xe07
	v_dual_mul_f32 v175, v93, v140 :: v_dual_mul_f32 v176, v95, v142
	v_dual_mul_f32 v171, v92, v140 :: v_dual_mul_f32 v140, v94, v142
	s_wait_loadcnt_dscnt 0xc06
	v_dual_mul_f32 v177, v97, v144 :: v_dual_mul_f32 v178, v99, v146
	s_delay_alu instid0(VALU_DEP_2)
	v_dual_mul_f32 v142, v96, v144 :: v_dual_fmac_f32 v171, v93, v139
	s_wait_loadcnt_dscnt 0xb05
	v_dual_mul_f32 v144, v98, v146 :: v_dual_mul_f32 v179, v101, v148
	v_mul_f32_e32 v146, v100, v148
	s_wait_loadcnt_dscnt 0x904
	v_dual_mul_f32 v180, v103, v150 :: v_dual_mul_f32 v181, v120, v152
	s_wait_loadcnt_dscnt 0x703
	v_dual_mul_f32 v148, v102, v150 :: v_dual_mul_f32 v183, v124, v156
	v_mul_f32_e32 v104, v119, v152
	s_wait_loadcnt_dscnt 0x502
	v_dual_mul_f32 v182, v122, v154 :: v_dual_mul_f32 v185, v128, v160
	;; [unrolled: 5-line block ×3, first 2 shown]
	v_mul_f32_e32 v154, v125, v158
	v_mul_f32_e32 v156, v127, v160
	;; [unrolled: 1-line block ×8, first 2 shown]
	s_wait_loadcnt 0x0
	v_mul_f32_e32 v168, v138, v170
	v_mul_f32_e32 v166, v137, v170
	v_fma_f32 v170, v92, v139, -v175
	v_fma_f32 v139, v94, v141, -v176
	v_fmac_f32_e32 v140, v95, v141
	v_fma_f32 v141, v96, v143, -v177
	v_fmac_f32_e32 v142, v97, v143
	;; [unrolled: 2-line block ×15, first 2 shown]
	ds_store_2addr_b64 v110, v[170:171], v[139:140] offset0:72 offset1:144
	ds_store_2addr_b64 v172, v[141:142], v[143:144] offset0:88 offset1:160
	;; [unrolled: 1-line block ×8, first 2 shown]
.LBB0_9:
	s_wait_alu 0xfffe
	s_or_b32 exec_lo, exec_lo, s2
	global_wb scope:SCOPE_SE
	s_wait_dscnt 0x0
	s_barrier_signal -1
	s_barrier_wait -1
	global_inv scope:SCOPE_SE
	s_and_saveexec_b32 s0, vcc_lo
	s_cbranch_execz .LBB0_11
; %bb.10:
	v_add_nc_u32_e32 v0, 0x1800, v115
	ds_load_b64 v[87:88], v115
	ds_load_2addr_b64 v[52:55], v0 offset0:24 offset1:96
	s_wait_dscnt 0x0
	v_dual_mov_b32 v76, v55 :: v_dual_add_nc_u32 v1, 0x2000, v115
	v_mov_b32_e32 v75, v54
	ds_load_2addr_b64 v[89:92], v0 offset0:168 offset1:240
	v_add_nc_u32_e32 v48, 0x400, v115
	v_add_nc_u32_e32 v49, 0x800, v115
	;; [unrolled: 1-line block ×4, first 2 shown]
	ds_load_2addr_b64 v[0:3], v1 offset0:56 offset1:128
	s_wait_dscnt 0x1
	v_dual_mov_b32 v54, v91 :: v_dual_mov_b32 v73, v89
	v_dual_mov_b32 v74, v90 :: v_dual_mov_b32 v55, v92
	ds_load_2addr_b64 v[68:71], v115 offset0:72 offset1:144
	ds_load_2addr_b64 v[56:59], v48 offset0:88 offset1:160
	;; [unrolled: 1-line block ×5, first 2 shown]
.LBB0_11:
	s_wait_alu 0xfffe
	s_or_b32 exec_lo, exec_lo, s0
	v_add_nc_u32_e32 v119, 0x330, v110
	global_wb scope:SCOPE_SE
	s_wait_dscnt 0x0
	s_barrier_signal -1
	s_barrier_wait -1
	global_inv scope:SCOPE_SE
	s_and_saveexec_b32 s0, vcc_lo
	s_cbranch_execz .LBB0_13
; %bb.12:
	v_dual_sub_f32 v126, v68, v2 :: v_dual_add_f32 v151, v3, v69
	v_dual_sub_f32 v123, v70, v0 :: v_dual_add_f32 v150, v1, v71
	v_dual_sub_f32 v121, v56, v54 :: v_dual_sub_f32 v122, v58, v73
	s_delay_alu instid0(VALU_DEP_3) | instskip(NEXT) | instid1(VALU_DEP_3)
	v_dual_mul_f32 v93, 0xbf06c442, v126 :: v_dual_add_f32 v146, v74, v59
	v_dual_add_f32 v149, v55, v57 :: v_dual_mul_f32 v94, 0x3f65296c, v123
	s_delay_alu instid0(VALU_DEP_2) | instskip(SKIP_2) | instid1(VALU_DEP_3)
	v_dual_sub_f32 v124, v60, v75 :: v_dual_fmamk_f32 v89, v151, 0xbf59a7d5, v93
	v_add_f32_e32 v147, v76, v61
	v_dual_mul_f32 v95, 0xbf7ee86f, v121 :: v_dual_add_f32 v148, v53, v63
	v_dual_fmamk_f32 v90, v150, 0x3ee437d1, v94 :: v_dual_add_f32 v89, v88, v89
	v_dual_mul_f32 v96, 0x3f4c4adb, v122 :: v_dual_sub_f32 v125, v62, v52
	s_delay_alu instid0(VALU_DEP_3) | instskip(SKIP_1) | instid1(VALU_DEP_3)
	v_dual_sub_f32 v120, v64, v50 :: v_dual_fmamk_f32 v91, v149, 0x3dbcf732, v95
	v_dual_add_f32 v128, v2, v68 :: v_dual_sub_f32 v139, v69, v3
	v_dual_mul_f32 v98, 0xbe3c28d5, v125 :: v_dual_add_f32 v129, v0, v70
	v_add_f32_e32 v89, v90, v89
	v_dual_mul_f32 v97, 0xbeb8f4ab, v124 :: v_dual_sub_f32 v136, v71, v1
	v_fmamk_f32 v90, v146, 0xbf1a4643, v96
	v_dual_mul_f32 v99, 0xbf06c442, v139 :: v_dual_add_f32 v140, v51, v65
	s_delay_alu instid0(VALU_DEP_3) | instskip(NEXT) | instid1(VALU_DEP_4)
	v_dual_add_f32 v89, v91, v89 :: v_dual_mul_f32 v100, 0x3f65296c, v136
	v_dual_fmamk_f32 v91, v147, 0x3f6eb680, v97 :: v_dual_add_f32 v130, v54, v56
	s_delay_alu instid0(VALU_DEP_3) | instskip(NEXT) | instid1(VALU_DEP_3)
	v_fma_f32 v92, 0xbf59a7d5, v128, -v99
	v_dual_add_f32 v89, v90, v89 :: v_dual_sub_f32 v138, v59, v74
	v_dual_sub_f32 v137, v57, v55 :: v_dual_add_f32 v132, v75, v60
	v_fmamk_f32 v90, v148, 0xbf7ba420, v98
	v_mul_f32_e32 v101, 0x3f2c7751, v120
	s_delay_alu instid0(VALU_DEP_4) | instskip(NEXT) | instid1(VALU_DEP_4)
	v_add_f32_e32 v89, v91, v89
	v_dual_add_f32 v91, v87, v92 :: v_dual_mul_f32 v102, 0xbf7ee86f, v137
	v_fma_f32 v92, 0x3ee437d1, v129, -v100
	v_dual_add_f32 v145, v49, v67 :: v_dual_add_f32 v134, v50, v64
	v_sub_f32_e32 v127, v66, v48
	v_dual_add_f32 v89, v90, v89 :: v_dual_fmamk_f32 v90, v140, 0x3f3d2fb0, v101
	v_sub_f32_e32 v141, v61, v76
	v_add_f32_e32 v91, v92, v91
	v_fma_f32 v92, 0x3dbcf732, v130, -v102
	v_dual_mul_f32 v152, 0xbf763a35, v127 :: v_dual_add_f32 v131, v73, v58
	v_sub_f32_e32 v142, v63, v53
	v_add_f32_e32 v89, v90, v89
	v_mul_f32_e32 v104, 0xbeb8f4ab, v141
	v_add_f32_e32 v90, v92, v91
	v_fmamk_f32 v92, v145, 0xbe8c1d8e, v152
	v_mul_f32_e32 v103, 0x3f4c4adb, v138
	v_dual_mul_f32 v155, 0xbe3c28d5, v142 :: v_dual_sub_f32 v144, v67, v49
	v_dual_sub_f32 v143, v65, v51 :: v_dual_mul_f32 v162, 0x3eb8f4ab, v136
	s_delay_alu instid0(VALU_DEP_3) | instskip(SKIP_2) | instid1(VALU_DEP_4)
	v_fma_f32 v91, 0xbf1a4643, v131, -v103
	v_add_f32_e32 v133, v52, v62
	v_mul_f32_e32 v153, 0x3eb8f4ab, v123
	v_mul_f32_e32 v156, 0x3f2c7751, v143
	s_delay_alu instid0(VALU_DEP_4)
	v_dual_mul_f32 v159, 0xbf06c442, v121 :: v_dual_add_f32 v90, v91, v90
	v_fma_f32 v91, 0x3f6eb680, v132, -v104
	v_fma_f32 v135, 0xbf7ba420, v133, -v155
	v_fmamk_f32 v158, v150, 0x3f6eb680, v153
	v_fma_f32 v164, 0x3f6eb680, v129, -v162
	v_fma_f32 v154, 0x3f3d2fb0, v134, -v156
	v_dual_add_f32 v91, v91, v90 :: v_dual_add_f32 v90, v92, v89
	v_mul_f32_e32 v92, 0xbe3c28d5, v126
	v_mul_f32_e32 v157, 0xbf763a35, v144
	v_mul_f32_e32 v163, 0xbf4c4adb, v124
	s_delay_alu instid0(VALU_DEP_4)
	v_add_f32_e32 v89, v135, v91
	v_dual_add_f32 v135, v48, v66 :: v_dual_mul_f32 v160, 0xbe3c28d5, v139
	v_fmamk_f32 v91, v151, 0xbf7ba420, v92
	v_fma_f32 v92, 0xbf7ba420, v151, -v92
	v_mul_f32_e32 v161, 0x3f2c7751, v122
	v_mul_f32_e32 v166, 0x3f65296c, v125
	;; [unrolled: 1-line block ×4, first 2 shown]
	v_add_f32_e32 v172, v88, v92
	v_dual_add_f32 v91, v88, v91 :: v_dual_fmac_f32 v162, 0x3f6eb680, v129
	v_mul_f32_e32 v171, 0x3f65296c, v142
	v_fma_f32 v93, 0xbf59a7d5, v151, -v93
	v_fma_f32 v94, 0x3ee437d1, v150, -v94
	s_delay_alu instid0(VALU_DEP_4)
	v_dual_add_f32 v91, v158, v91 :: v_dual_fmamk_f32 v158, v149, 0xbf59a7d5, v159
	v_add_f32_e32 v89, v154, v89
	v_fma_f32 v154, 0xbe8c1d8e, v135, -v157
	v_add_f32_e32 v93, v88, v93
	v_fma_f32 v96, 0xbf1a4643, v146, -v96
	v_add_f32_e32 v91, v158, v91
	v_fmamk_f32 v158, v146, 0x3f3d2fb0, v161
	s_delay_alu instid0(VALU_DEP_4) | instskip(SKIP_2) | instid1(VALU_DEP_4)
	v_dual_fmac_f32 v156, 0x3f3d2fb0, v134 :: v_dual_add_f32 v93, v94, v93
	v_fma_f32 v94, 0x3dbcf732, v149, -v95
	v_fmac_f32_e32 v99, 0xbf59a7d5, v128
	v_dual_add_f32 v91, v158, v91 :: v_dual_fmamk_f32 v158, v147, 0xbf1a4643, v163
	v_add_f32_e32 v89, v154, v89
	v_fma_f32 v154, 0xbf7ba420, v128, -v160
	v_fmac_f32_e32 v160, 0xbf7ba420, v128
	v_mul_f32_e32 v167, 0x3f2c7751, v138
	v_dual_add_f32 v91, v158, v91 :: v_dual_fmamk_f32 v158, v148, 0x3ee437d1, v166
	s_delay_alu instid0(VALU_DEP_4) | instskip(NEXT) | instid1(VALU_DEP_4)
	v_add_f32_e32 v154, v87, v154
	v_dual_add_f32 v160, v87, v160 :: v_dual_mul_f32 v169, 0xbf4c4adb, v141
	v_fma_f32 v153, 0x3f6eb680, v150, -v153
	s_delay_alu instid0(VALU_DEP_4) | instskip(NEXT) | instid1(VALU_DEP_4)
	v_dual_add_f32 v91, v158, v91 :: v_dual_fmamk_f32 v158, v140, 0xbe8c1d8e, v168
	v_add_f32_e32 v154, v164, v154
	s_delay_alu instid0(VALU_DEP_4) | instskip(NEXT) | instid1(VALU_DEP_4)
	v_add_f32_e32 v160, v162, v160
	v_add_f32_e32 v153, v153, v172
	v_add_f32_e32 v93, v94, v93
	v_dual_add_f32 v91, v158, v91 :: v_dual_fmamk_f32 v158, v145, 0x3dbcf732, v170
	v_mul_f32_e32 v165, 0xbf06c442, v137
	v_fma_f32 v98, 0xbf7ba420, v148, -v98
	s_delay_alu instid0(VALU_DEP_4) | instskip(SKIP_4) | instid1(VALU_DEP_4)
	v_add_f32_e32 v93, v96, v93
	v_fma_f32 v96, 0x3f6eb680, v147, -v97
	v_add_f32_e32 v92, v158, v91
	v_fma_f32 v164, 0xbf59a7d5, v130, -v165
	v_mul_f32_e32 v158, 0xbf763a35, v143
	v_dual_fmac_f32 v165, 0xbf59a7d5, v130 :: v_dual_add_f32 v96, v96, v93
	s_delay_alu instid0(VALU_DEP_3) | instskip(SKIP_1) | instid1(VALU_DEP_3)
	v_dual_add_f32 v97, v87, v99 :: v_dual_add_f32 v154, v164, v154
	v_fma_f32 v164, 0x3f3d2fb0, v131, -v167
	v_dual_fmac_f32 v167, 0x3f3d2fb0, v131 :: v_dual_add_f32 v96, v98, v96
	v_fmac_f32_e32 v102, 0x3dbcf732, v130
	v_fma_f32 v99, 0x3f3d2fb0, v140, -v101
	s_delay_alu instid0(VALU_DEP_4)
	v_add_f32_e32 v154, v164, v154
	v_fma_f32 v164, 0xbf1a4643, v132, -v169
	v_fmac_f32_e32 v169, 0xbf1a4643, v132
	v_fmac_f32_e32 v100, 0x3ee437d1, v129
	;; [unrolled: 1-line block ×3, first 2 shown]
	v_add_f32_e32 v96, v99, v96
	v_add_f32_e32 v154, v164, v154
	v_fma_f32 v164, 0x3ee437d1, v133, -v171
	v_fma_f32 v99, 0xbe8c1d8e, v145, -v152
	v_dual_fmac_f32 v103, 0xbf1a4643, v131 :: v_dual_mul_f32 v152, 0xbf1a4643, v145
	s_delay_alu instid0(VALU_DEP_3) | instskip(SKIP_4) | instid1(VALU_DEP_4)
	v_dual_mul_f32 v172, 0x3f763a35, v136 :: v_dual_add_f32 v91, v164, v154
	v_fma_f32 v154, 0xbf59a7d5, v149, -v159
	v_fma_f32 v159, 0xbe8c1d8e, v134, -v158
	v_mul_f32_e32 v164, 0x3f7ee86f, v144
	v_fmac_f32_e32 v158, 0xbe8c1d8e, v134
	v_dual_add_f32 v96, v99, v96 :: v_dual_add_f32 v153, v154, v153
	v_fma_f32 v154, 0x3f3d2fb0, v146, -v161
	v_add_f32_e32 v91, v159, v91
	v_fma_f32 v159, 0x3dbcf732, v135, -v164
	v_fmac_f32_e32 v164, 0x3dbcf732, v135
	v_mul_f32_e32 v198, 0x3f763a35, v137
	v_add_f32_e32 v153, v154, v153
	v_fma_f32 v154, 0xbf1a4643, v147, -v163
	v_add_f32_e32 v91, v159, v91
	v_add_f32_e32 v159, v165, v160
	v_dual_mul_f32 v160, 0xbf7ba420, v140 :: v_dual_add_f32 v97, v100, v97
	s_delay_alu instid0(VALU_DEP_4) | instskip(SKIP_4) | instid1(VALU_DEP_4)
	v_add_f32_e32 v153, v154, v153
	v_fma_f32 v154, 0x3ee437d1, v148, -v166
	v_mul_f32_e32 v166, 0xbf1a4643, v151
	v_add_f32_e32 v159, v167, v159
	v_dual_add_f32 v97, v102, v97 :: v_dual_fmamk_f32 v100, v120, 0x3e3c28d5, v160
	v_add_f32_e32 v153, v154, v153
	v_fma_f32 v154, 0xbe8c1d8e, v140, -v168
	s_delay_alu instid0(VALU_DEP_4)
	v_add_f32_e32 v95, v169, v159
	v_mul_f32_e32 v169, 0xbe8c1d8e, v151
	v_mul_f32_e32 v163, 0xbf59a7d5, v150
	;; [unrolled: 1-line block ×3, first 2 shown]
	v_add_f32_e32 v153, v154, v153
	v_fma_f32 v154, 0x3dbcf732, v145, -v170
	v_fmamk_f32 v101, v126, 0x3f763a35, v169
	v_dual_mul_f32 v185, 0xbf06c442, v138 :: v_dual_fmamk_f32 v102, v123, 0xbf06c442, v163
	v_fmac_f32_e32 v155, 0xbf7ba420, v133
	s_delay_alu instid0(VALU_DEP_4) | instskip(SKIP_4) | instid1(VALU_DEP_4)
	v_add_f32_e32 v94, v154, v153
	v_fmac_f32_e32 v171, 0x3ee437d1, v133
	v_dual_mul_f32 v154, 0xbf59a7d5, v146 :: v_dual_add_f32 v101, v88, v101
	v_mul_f32_e32 v168, 0xbe3c28d5, v143
	v_mul_f32_e32 v180, 0x3ee437d1, v147
	v_add_f32_e32 v95, v171, v95
	v_mul_f32_e32 v153, 0x3f6eb680, v149
	v_add_f32_e32 v101, v102, v101
	v_mul_f32_e32 v162, 0x3ee437d1, v145
	v_mul_f32_e32 v171, 0xbf4c4adb, v139
	v_add_f32_e32 v95, v158, v95
	v_mul_f32_e32 v158, 0x3dbcf732, v147
	v_mul_f32_e32 v186, 0x3f7ee86f, v141
	v_dual_fmac_f32 v157, 0xbe8c1d8e, v135 :: v_dual_mul_f32 v194, 0xbe8c1d8e, v149
	s_delay_alu instid0(VALU_DEP_4)
	v_dual_add_f32 v93, v164, v95 :: v_dual_mul_f32 v174, 0xbeb8f4ab, v137
	v_mul_f32_e32 v164, 0x3f3d2fb0, v149
	v_add_f32_e32 v97, v103, v97
	v_fmamk_f32 v95, v126, 0x3f4c4adb, v166
	v_fmamk_f32 v99, v128, 0xbf1a4643, v171
	v_mul_f32_e32 v187, 0xbf763a35, v139
	s_delay_alu instid0(VALU_DEP_4) | instskip(NEXT) | instid1(VALU_DEP_4)
	v_dual_fmamk_f32 v102, v121, 0xbf2c7751, v164 :: v_dual_add_f32 v97, v104, v97
	v_add_f32_e32 v95, v88, v95
	v_mul_f32_e32 v199, 0x3ee437d1, v151
	v_mul_f32_e32 v211, 0xbf4c4adb, v136
	s_delay_alu instid0(VALU_DEP_4)
	v_add_f32_e32 v101, v102, v101
	v_add_f32_e32 v97, v155, v97
	v_mul_f32_e32 v155, 0x3ee437d1, v146
	v_dual_mul_f32 v173, 0x3f65296c, v144 :: v_dual_fmamk_f32 v170, v126, 0x3f65296c, v199
	v_mul_f32_e32 v188, 0x3f06c442, v136
	v_fmamk_f32 v177, v129, 0xbf1a4643, v211
	s_delay_alu instid0(VALU_DEP_4)
	v_fmamk_f32 v102, v122, 0x3f65296c, v155
	v_mul_f32_e32 v167, 0xbe8c1d8e, v150
	v_add_f32_e32 v97, v156, v97
	v_mul_f32_e32 v161, 0x3f6eb680, v140
	v_mul_f32_e32 v190, 0x3dbcf732, v151
	v_add_f32_e32 v170, v88, v170
	v_fmamk_f32 v98, v123, 0xbf763a35, v167
	v_mul_f32_e32 v192, 0xbf7ba420, v150
	v_mul_f32_e32 v178, 0x3f6eb680, v146
	v_fmamk_f32 v103, v126, 0x3f7ee86f, v190
	v_mul_f32_e32 v201, 0xbf1a4643, v150
	v_dual_add_f32 v95, v98, v95 :: v_dual_fmamk_f32 v98, v121, 0x3eb8f4ab, v153
	v_mul_f32_e32 v183, 0xbf2c7751, v142
	s_delay_alu instid0(VALU_DEP_4) | instskip(NEXT) | instid1(VALU_DEP_3)
	v_dual_add_f32 v103, v88, v103 :: v_dual_mul_f32 v204, 0xbf06c442, v142
	v_dual_fmamk_f32 v104, v123, 0x3e3c28d5, v192 :: v_dual_add_f32 v95, v98, v95
	v_fmamk_f32 v98, v122, 0x3f06c442, v154
	v_fmamk_f32 v175, v123, 0x3f4c4adb, v201
	v_mul_f32_e32 v203, 0xbf7ba420, v149
	s_delay_alu instid0(VALU_DEP_4) | instskip(NEXT) | instid1(VALU_DEP_4)
	v_dual_add_f32 v103, v104, v103 :: v_dual_mul_f32 v182, 0x3f6eb680, v148
	v_dual_add_f32 v95, v98, v95 :: v_dual_fmamk_f32 v98, v124, 0xbf7ee86f, v158
	v_fmamk_f32 v104, v121, 0xbf763a35, v194
	s_delay_alu instid0(VALU_DEP_4) | instskip(SKIP_1) | instid1(VALU_DEP_4)
	v_dual_add_f32 v170, v175, v170 :: v_dual_fmamk_f32 v175, v121, 0xbe3c28d5, v203
	v_mul_f32_e32 v156, 0xbf7ba420, v147
	v_dual_add_f32 v95, v98, v95 :: v_dual_fmamk_f32 v98, v125, 0x3f2c7751, v159
	s_delay_alu instid0(VALU_DEP_4) | instskip(NEXT) | instid1(VALU_DEP_4)
	v_dual_add_f32 v103, v104, v103 :: v_dual_fmamk_f32 v104, v122, 0xbeb8f4ab, v178
	v_add_f32_e32 v170, v175, v170
	v_mul_f32_e32 v234, 0x3f763a35, v142
	s_delay_alu instid0(VALU_DEP_4) | instskip(SKIP_3) | instid1(VALU_DEP_4)
	v_dual_add_f32 v98, v98, v95 :: v_dual_add_f32 v95, v157, v97
	v_add_f32_e32 v97, v87, v99
	v_fmamk_f32 v99, v129, 0xbe8c1d8e, v172
	v_mul_f32_e32 v205, 0xbe8c1d8e, v146
	v_add_f32_e32 v98, v100, v98
	v_fmamk_f32 v100, v127, 0xbf65296c, v162
	s_delay_alu instid0(VALU_DEP_4) | instskip(SKIP_2) | instid1(VALU_DEP_4)
	v_dual_mul_f32 v184, 0xbf4c4adb, v144 :: v_dual_add_f32 v97, v99, v97
	v_fmamk_f32 v99, v130, 0x3f6eb680, v174
	v_mul_f32_e32 v196, 0xbf7ee86f, v139
	v_add_f32_e32 v98, v100, v98
	v_dual_add_f32 v100, v102, v101 :: v_dual_mul_f32 v157, 0x3dbcf732, v148
	s_delay_alu instid0(VALU_DEP_4)
	v_add_f32_e32 v97, v99, v97
	v_fmamk_f32 v99, v131, 0xbf59a7d5, v185
	v_fmamk_f32 v175, v122, 0xbf763a35, v205
	;; [unrolled: 1-line block ×4, first 2 shown]
	v_dual_mul_f32 v189, 0x3f2c7751, v137 :: v_dual_mul_f32 v208, 0x3f2c7751, v144
	v_add_f32_e32 v97, v99, v97
	v_fmamk_f32 v99, v132, 0x3dbcf732, v186
	v_mul_f32_e32 v181, 0xbf59a7d5, v148
	v_mul_f32_e32 v200, 0x3eb8f4ab, v138
	v_dual_mul_f32 v191, 0xbf65296c, v138 :: v_dual_mul_f32 v202, 0xbf65296c, v141
	s_delay_alu instid0(VALU_DEP_4)
	v_add_f32_e32 v97, v99, v97
	v_fmamk_f32 v99, v133, 0x3f3d2fb0, v183
	v_mul_f32_e32 v222, 0xbf7ee86f, v143
	v_mul_f32_e32 v193, 0xbe3c28d5, v141
	;; [unrolled: 1-line block ×4, first 2 shown]
	v_add_f32_e32 v97, v99, v97
	v_fmamk_f32 v99, v134, 0xbf7ba420, v168
	v_fmamk_f32 v224, v134, 0x3dbcf732, v222
	v_dual_mul_f32 v179, 0xbeb8f4ab, v143 :: v_dual_mul_f32 v220, 0xbeb8f4ab, v142
	v_mul_f32_e32 v213, 0x3f3d2fb0, v151
	s_delay_alu instid0(VALU_DEP_4)
	v_add_f32_e32 v97, v99, v97
	v_add_f32_e32 v99, v101, v100
	v_fmamk_f32 v100, v125, 0xbf7ee86f, v157
	v_fmamk_f32 v101, v135, 0x3ee437d1, v173
	;; [unrolled: 1-line block ×4, first 2 shown]
	s_delay_alu instid0(VALU_DEP_4) | instskip(NEXT) | instid1(VALU_DEP_4)
	v_dual_mul_f32 v216, 0x3dbcf732, v150 :: v_dual_add_f32 v99, v100, v99
	v_dual_fmamk_f32 v100, v120, 0x3eb8f4ab, v161 :: v_dual_add_f32 v97, v101, v97
	v_dual_mul_f32 v176, 0xbf1a4643, v140 :: v_dual_add_f32 v101, v87, v102
	s_delay_alu instid0(VALU_DEP_2) | instskip(SKIP_2) | instid1(VALU_DEP_3)
	v_dual_fmamk_f32 v102, v129, 0xbf59a7d5, v188 :: v_dual_add_f32 v99, v100, v99
	v_mul_f32_e32 v197, 0xbe3c28d5, v136
	v_mul_f32_e32 v206, 0x3f4c4adb, v143
	v_dual_mul_f32 v207, 0x3f3d2fb0, v147 :: v_dual_add_f32 v100, v102, v101
	v_fmamk_f32 v101, v130, 0x3f3d2fb0, v189
	v_fmamk_f32 v102, v127, 0x3f4c4adb, v152
	v_dual_mul_f32 v212, 0x3e3c28d5, v137 :: v_dual_add_f32 v215, v88, v215
	v_fmamk_f32 v218, v123, 0x3f7ee86f, v216
	s_delay_alu instid0(VALU_DEP_4)
	v_dual_add_f32 v100, v101, v100 :: v_dual_fmamk_f32 v101, v131, 0x3ee437d1, v191
	v_fmac_f32_e32 v153, 0xbeb8f4ab, v121
	v_mul_f32_e32 v227, 0xbf7ee86f, v136
	v_mul_f32_e32 v219, 0xbf1a4643, v149
	v_dual_mul_f32 v231, 0xbf4c4adb, v137 :: v_dual_fmac_f32 v166, 0xbf4c4adb, v126
	v_add_f32_e32 v100, v101, v100
	s_delay_alu instid0(VALU_DEP_4) | instskip(SKIP_4) | instid1(VALU_DEP_4)
	v_fmamk_f32 v230, v129, 0x3dbcf732, v227
	v_fmamk_f32 v101, v132, 0xbf7ba420, v193
	v_dual_mul_f32 v214, 0x3f763a35, v138 :: v_dual_add_f32 v215, v218, v215
	v_mul_f32_e32 v232, 0x3f06c442, v141
	v_fmamk_f32 v218, v121, 0x3f4c4adb, v219
	v_add_f32_e32 v100, v101, v100
	v_fmamk_f32 v101, v133, 0x3dbcf732, v195
	v_mul_f32_e32 v221, 0xbf7ba420, v146
	v_add_f32_e32 v69, v69, v88
	v_dual_add_f32 v215, v218, v215 :: v_dual_mul_f32 v150, 0x3f3d2fb0, v150
	s_delay_alu instid0(VALU_DEP_4) | instskip(SKIP_3) | instid1(VALU_DEP_4)
	v_dual_add_f32 v101, v101, v100 :: v_dual_add_f32 v100, v102, v99
	v_add_f32_e32 v99, v104, v103
	v_fmamk_f32 v102, v124, 0x3f65296c, v180
	v_fmamk_f32 v103, v135, 0xbf1a4643, v184
	v_dual_add_f32 v101, v165, v101 :: v_dual_fmamk_f32 v104, v128, 0x3dbcf732, v196
	v_fmamk_f32 v218, v122, 0x3e3c28d5, v221
	s_delay_alu instid0(VALU_DEP_4) | instskip(SKIP_2) | instid1(VALU_DEP_3)
	v_dual_add_f32 v99, v102, v99 :: v_dual_fmamk_f32 v102, v125, 0x3f06c442, v181
	v_dual_add_f32 v69, v71, v69 :: v_dual_fmac_f32 v154, 0xbf06c442, v122
	v_fmac_f32_e32 v158, 0x3f7ee86f, v124
	v_dual_fmamk_f32 v233, v123, 0x3f2c7751, v150 :: v_dual_add_f32 v102, v102, v99
	v_add_f32_e32 v99, v103, v101
	v_add_f32_e32 v101, v87, v104
	v_fmamk_f32 v103, v129, 0xbf7ba420, v197
	v_fmamk_f32 v165, v120, 0xbf4c4adb, v176
	v_add_f32_e32 v57, v57, v69
	v_fmac_f32_e32 v167, 0x3f763a35, v123
	v_mul_f32_e32 v225, 0xbf06c442, v144
	v_add_f32_e32 v101, v103, v101
	v_dual_fmamk_f32 v103, v130, 0xbe8c1d8e, v198 :: v_dual_add_f32 v102, v165, v102
	v_mul_f32_e32 v165, 0x3f3d2fb0, v145
	s_delay_alu instid0(VALU_DEP_4) | instskip(NEXT) | instid1(VALU_DEP_3)
	v_fmamk_f32 v228, v135, 0xbf59a7d5, v225
	v_dual_add_f32 v68, v68, v87 :: v_dual_add_f32 v101, v103, v101
	v_fmamk_f32 v103, v131, 0x3f6eb680, v200
	s_delay_alu instid0(VALU_DEP_4) | instskip(NEXT) | instid1(VALU_DEP_3)
	v_fmamk_f32 v104, v127, 0xbf2c7751, v165
	v_dual_mul_f32 v209, 0xbf65296c, v139 :: v_dual_add_f32 v68, v70, v68
	s_delay_alu instid0(VALU_DEP_3) | instskip(SKIP_1) | instid1(VALU_DEP_4)
	v_dual_mul_f32 v136, 0xbf2c7751, v136 :: v_dual_add_f32 v101, v103, v101
	v_fmamk_f32 v103, v132, 0x3ee437d1, v202
	v_add_f32_e32 v102, v104, v102
	v_add_f32_e32 v104, v175, v170
	v_fmamk_f32 v170, v124, 0xbf2c7751, v207
	s_delay_alu instid0(VALU_DEP_4)
	v_dual_fmamk_f32 v70, v129, 0x3f3d2fb0, v136 :: v_dual_add_f32 v101, v103, v101
	v_fmamk_f32 v103, v133, 0xbf59a7d5, v204
	v_fmamk_f32 v175, v128, 0x3ee437d1, v209
	v_mul_f32_e32 v236, 0xbe8c1d8e, v147
	v_add_f32_e32 v56, v56, v68
	v_fmac_f32_e32 v164, 0x3f2c7751, v121
	v_add_f32_e32 v101, v103, v101
	v_fmamk_f32 v103, v134, 0xbf1a4643, v206
	v_add_f32_e32 v175, v87, v175
	v_dual_add_f32 v57, v59, v57 :: v_dual_add_f32 v56, v58, v56
	v_mul_f32_e32 v217, 0x3f2c7751, v141
	s_delay_alu instid0(VALU_DEP_4) | instskip(SKIP_1) | instid1(VALU_DEP_4)
	v_add_f32_e32 v101, v103, v101
	v_dual_add_f32 v103, v170, v104 :: v_dual_fmamk_f32 v104, v125, 0x3eb8f4ab, v182
	v_dual_fmamk_f32 v170, v135, 0x3f3d2fb0, v208 :: v_dual_add_f32 v57, v61, v57
	v_fmac_f32_e32 v190, 0xbf7ee86f, v126
	v_add_f32_e32 v56, v60, v56
	s_delay_alu instid0(VALU_DEP_4) | instskip(NEXT) | instid1(VALU_DEP_4)
	v_add_f32_e32 v103, v104, v103
	v_dual_fmamk_f32 v104, v120, 0x3f7ee86f, v210 :: v_dual_add_f32 v101, v170, v101
	v_mul_f32_e32 v170, 0xbf59a7d5, v145
	s_delay_alu instid0(VALU_DEP_4) | instskip(NEXT) | instid1(VALU_DEP_3)
	v_dual_add_f32 v57, v63, v57 :: v_dual_add_f32 v56, v62, v56
	v_add_f32_e32 v103, v104, v103
	s_delay_alu instid0(VALU_DEP_3) | instskip(SKIP_1) | instid1(VALU_DEP_4)
	v_dual_add_f32 v104, v177, v175 :: v_dual_fmamk_f32 v177, v127, 0x3f06c442, v170
	v_fmamk_f32 v175, v130, 0xbf7ba420, v212
	v_dual_add_f32 v57, v65, v57 :: v_dual_fmac_f32 v178, 0x3eb8f4ab, v122
	v_dual_add_f32 v56, v64, v56 :: v_dual_mul_f32 v223, 0xbf59a7d5, v147
	s_delay_alu instid0(VALU_DEP_3) | instskip(SKIP_1) | instid1(VALU_DEP_4)
	v_add_f32_e32 v104, v175, v104
	v_fmamk_f32 v175, v131, 0xbe8c1d8e, v214
	v_dual_add_f32 v57, v67, v57 :: v_dual_fmac_f32 v152, 0xbf4c4adb, v127
	s_delay_alu instid0(VALU_DEP_4) | instskip(SKIP_1) | instid1(VALU_DEP_4)
	v_add_f32_e32 v56, v66, v56
	v_mul_f32_e32 v58, 0xbf7ee86f, v138
	v_dual_add_f32 v104, v175, v104 :: v_dual_fmamk_f32 v175, v132, 0x3f3d2fb0, v217
	s_delay_alu instid0(VALU_DEP_4) | instskip(NEXT) | instid1(VALU_DEP_4)
	v_dual_add_f32 v57, v49, v57 :: v_dual_fmac_f32 v180, 0xbf65296c, v124
	v_add_f32_e32 v48, v48, v56
	s_delay_alu instid0(VALU_DEP_4) | instskip(NEXT) | instid1(VALU_DEP_4)
	v_fmamk_f32 v60, v131, 0x3dbcf732, v58
	v_dual_add_f32 v104, v175, v104 :: v_dual_fmamk_f32 v175, v133, 0x3f6eb680, v220
	s_delay_alu instid0(VALU_DEP_3) | instskip(SKIP_2) | instid1(VALU_DEP_4)
	v_dual_fmac_f32 v163, 0x3f06c442, v123 :: v_dual_add_f32 v48, v50, v48
	v_fmac_f32_e32 v181, 0xbf06c442, v125
	v_add_f32_e32 v51, v51, v57
	v_dual_add_f32 v175, v175, v104 :: v_dual_add_f32 v104, v177, v103
	v_add_f32_e32 v103, v218, v215
	v_fmamk_f32 v215, v124, 0xbf06c442, v223
	v_dual_mul_f32 v177, 0xbe8c1d8e, v148 :: v_dual_add_f32 v50, v88, v166
	v_dual_add_f32 v51, v53, v51 :: v_dual_add_f32 v52, v52, v48
	s_delay_alu instid0(VALU_DEP_3)
	v_add_f32_e32 v103, v215, v103
	v_add_f32_e32 v218, v224, v175
	v_mul_f32_e32 v224, 0xbf2c7751, v139
	v_mul_f32_e32 v139, 0xbeb8f4ab, v139
	v_fmamk_f32 v215, v125, 0xbf763a35, v177
	v_mul_f32_e32 v175, 0x3ee437d1, v140
	v_dual_add_f32 v51, v76, v51 :: v_dual_fmac_f32 v176, 0x3f4c4adb, v120
	s_delay_alu instid0(VALU_DEP_4) | instskip(NEXT) | instid1(VALU_DEP_4)
	v_fmamk_f32 v71, v128, 0x3f6eb680, v139
	v_dual_fmamk_f32 v226, v128, 0x3f3d2fb0, v224 :: v_dual_add_f32 v215, v215, v103
	v_mul_f32_e32 v62, 0xbf4c4adb, v142
	v_dual_fmamk_f32 v229, v120, 0xbf65296c, v175 :: v_dual_add_f32 v52, v75, v52
	s_delay_alu instid0(VALU_DEP_4) | instskip(NEXT) | instid1(VALU_DEP_4)
	v_dual_add_f32 v69, v87, v71 :: v_dual_fmac_f32 v160, 0xbe3c28d5, v120
	v_dual_mul_f32 v71, 0xbf65296c, v137 :: v_dual_add_f32 v226, v87, v226
	v_dual_add_f32 v103, v228, v218 :: v_dual_mul_f32 v218, 0x3f6eb680, v151
	s_delay_alu instid0(VALU_DEP_3)
	v_add_f32_e32 v68, v70, v69
	v_dual_add_f32 v50, v167, v50 :: v_dual_add_f32 v51, v74, v51
	v_fmac_f32_e32 v219, 0xbf4c4adb, v121
	v_fmac_f32_e32 v155, 0xbf65296c, v122
	v_fmamk_f32 v69, v130, 0x3ee437d1, v71
	v_add_f32_e32 v226, v230, v226
	v_fmamk_f32 v230, v126, 0x3eb8f4ab, v218
	v_dual_add_f32 v50, v153, v50 :: v_dual_add_f32 v51, v55, v51
	s_delay_alu instid0(VALU_DEP_4)
	v_dual_add_f32 v61, v69, v68 :: v_dual_fmac_f32 v192, 0xbe3c28d5, v123
	v_dual_mul_f32 v68, 0xbf7ba420, v145 :: v_dual_add_f32 v215, v229, v215
	v_dual_mul_f32 v229, 0xbe3c28d5, v138 :: v_dual_add_f32 v52, v73, v52
	v_fmamk_f32 v228, v130, 0xbf1a4643, v231
	v_dual_mul_f32 v151, 0x3f6eb680, v145 :: v_dual_add_f32 v50, v154, v50
	v_dual_add_f32 v230, v88, v230 :: v_dual_add_f32 v1, v1, v51
	s_delay_alu instid0(VALU_DEP_4) | instskip(NEXT) | instid1(VALU_DEP_4)
	v_dual_add_f32 v51, v54, v52 :: v_dual_fmac_f32 v182, 0xbeb8f4ab, v125
	v_dual_mul_f32 v149, 0x3ee437d1, v149 :: v_dual_add_f32 v226, v228, v226
	v_fmamk_f32 v228, v131, 0xbf7ba420, v229
	s_delay_alu instid0(VALU_DEP_3)
	v_dual_add_f32 v0, v0, v51 :: v_dual_mul_f32 v235, 0x3dbcf732, v146
	v_fma_f32 v55, 0x3f6eb680, v130, -v174
	v_add_f32_e32 v50, v158, v50
	v_add_f32_e32 v230, v233, v230
	v_fmamk_f32 v233, v121, 0x3f65296c, v149
	v_dual_fmac_f32 v159, 0xbf2c7751, v125 :: v_dual_add_f32 v226, v228, v226
	v_dual_fmamk_f32 v228, v132, 0xbf59a7d5, v232 :: v_dual_add_f32 v1, v3, v1
	v_fmac_f32_e32 v216, 0xbf7ee86f, v123
	s_delay_alu instid0(VALU_DEP_4) | instskip(NEXT) | instid1(VALU_DEP_4)
	v_add_f32_e32 v230, v233, v230
	v_add_f32_e32 v3, v159, v50
	s_delay_alu instid0(VALU_DEP_4)
	v_dual_fmamk_f32 v233, v122, 0x3f7ee86f, v235 :: v_dual_add_f32 v146, v228, v226
	v_mul_f32_e32 v228, 0x3f65296c, v143
	v_mul_f32_e32 v148, 0xbf1a4643, v148
	v_dual_fmamk_f32 v237, v127, 0xbeb8f4ab, v151 :: v_dual_add_f32 v0, v2, v0
	v_add_f32_e32 v2, v160, v3
	v_dual_add_f32 v230, v233, v230 :: v_dual_fmamk_f32 v233, v124, 0x3f763a35, v236
	v_fmamk_f32 v226, v133, 0xbe8c1d8e, v234
	v_mul_f32_e32 v140, 0xbf59a7d5, v140
	v_fma_f32 v51, 0x3dbcf732, v132, -v186
	s_delay_alu instid0(VALU_DEP_4) | instskip(NEXT) | instid1(VALU_DEP_4)
	v_dual_fmamk_f32 v147, v134, 0x3ee437d1, v228 :: v_dual_add_f32 v230, v233, v230
	v_add_f32_e32 v146, v226, v146
	v_fmac_f32_e32 v169, 0xbf763a35, v126
	v_fmamk_f32 v233, v125, 0x3f4c4adb, v148
	v_fmamk_f32 v59, v120, 0x3f06c442, v140
	;; [unrolled: 1-line block ×3, first 2 shown]
	v_dual_add_f32 v146, v147, v146 :: v_dual_add_f32 v147, v237, v215
	s_delay_alu instid0(VALU_DEP_4) | instskip(SKIP_2) | instid1(VALU_DEP_3)
	v_dual_add_f32 v215, v233, v230 :: v_dual_fmac_f32 v162, 0x3f65296c, v127
	v_fmac_f32_e32 v157, 0x3f7ee86f, v125
	v_mul_f32_e32 v63, 0xbf763a35, v141
	v_dual_add_f32 v60, v60, v61 :: v_dual_add_f32 v59, v59, v215
	v_fmac_f32_e32 v156, 0xbe3c28d5, v124
	v_mul_f32_e32 v57, 0xbe3c28d5, v144
	v_dual_fmac_f32 v210, 0xbf7ee86f, v120 :: v_dual_add_f32 v3, v162, v2
	v_fmac_f32_e32 v170, 0xbf06c442, v127
	v_dual_add_f32 v49, v64, v59 :: v_dual_fmac_f32 v194, 0x3f763a35, v121
	v_fma_f32 v64, 0xbf59a7d5, v135, -v225
	v_fmac_f32_e32 v161, 0xbeb8f4ab, v120
	v_fmamk_f32 v61, v132, 0xbe8c1d8e, v63
	v_mul_f32_e32 v59, 0xbf06c442, v143
	v_fma_f32 v2, 0xbe8c1d8e, v128, -v187
	v_fma_f32 v54, 0x3f3d2fb0, v130, -v189
	s_delay_alu instid0(VALU_DEP_4) | instskip(SKIP_4) | instid1(VALU_DEP_4)
	v_dual_fmac_f32 v221, 0xbe3c28d5, v122 :: v_dual_add_f32 v60, v61, v60
	v_fmamk_f32 v61, v133, 0xbf1a4643, v62
	v_fmamk_f32 v56, v134, 0xbf59a7d5, v59
	v_dual_add_f32 v2, v87, v2 :: v_dual_fmac_f32 v223, 0x3f06c442, v124
	v_fmac_f32_e32 v218, 0xbeb8f4ab, v126
	v_add_f32_e32 v60, v61, v60
	v_fma_f32 v61, 0xbf1a4643, v134, -v206
	v_fmac_f32_e32 v177, 0x3f763a35, v125
	v_fmac_f32_e32 v150, 0xbf2c7751, v123
	;; [unrolled: 1-line block ×3, first 2 shown]
	v_dual_add_f32 v53, v56, v60 :: v_dual_fmamk_f32 v56, v135, 0xbf7ba420, v57
	v_fma_f32 v60, 0xbf1a4643, v129, -v211
	v_fma_f32 v58, 0x3dbcf732, v131, -v58
	v_fmac_f32_e32 v165, 0x3f2c7751, v127
	s_delay_alu instid0(VALU_DEP_4) | instskip(SKIP_4) | instid1(VALU_DEP_4)
	v_dual_fmac_f32 v213, 0xbf2c7751, v126 :: v_dual_add_f32 v48, v56, v53
	v_fma_f32 v53, 0xbf1a4643, v128, -v171
	v_fma_f32 v56, 0xbe8c1d8e, v129, -v172
	v_fmac_f32_e32 v175, 0x3f65296c, v120
	v_dual_fmac_f32 v68, 0xbe3c28d5, v127 :: v_dual_add_f32 v65, v88, v218
	v_add_f32_e32 v53, v87, v53
	v_fma_f32 v66, 0xbf59a7d5, v132, -v232
	v_fmac_f32_e32 v149, 0xbf65296c, v121
	s_delay_alu instid0(VALU_DEP_4) | instskip(NEXT) | instid1(VALU_DEP_4)
	v_dual_mul_f32 v226, 0x3eb8f4ab, v144 :: v_dual_add_f32 v65, v150, v65
	v_add_f32_e32 v53, v56, v53
	v_fma_f32 v56, 0xbf7ba420, v129, -v197
	v_fmac_f32_e32 v151, 0x3eb8f4ab, v127
	s_delay_alu instid0(VALU_DEP_4) | instskip(NEXT) | instid1(VALU_DEP_4)
	v_dual_fmamk_f32 v238, v135, 0x3f6eb680, v226 :: v_dual_add_f32 v65, v149, v65
	v_add_f32_e32 v52, v55, v53
	v_fma_f32 v53, 0xbf59a7d5, v131, -v185
	v_fma_f32 v55, 0x3f6eb680, v134, -v179
	s_delay_alu instid0(VALU_DEP_4)
	v_add_f32_e32 v146, v238, v146
	v_fmac_f32_e32 v148, 0xbf4c4adb, v125
	v_fmac_f32_e32 v140, 0xbf06c442, v120
	v_add_f32_e32 v50, v53, v52
	v_add_f32_e32 v52, v88, v169
	v_fma_f32 v53, 0xbf59a7d5, v129, -v188
	v_fmac_f32_e32 v235, 0xbf7ee86f, v122
	s_delay_alu instid0(VALU_DEP_4) | instskip(SKIP_1) | instid1(VALU_DEP_4)
	v_add_f32_e32 v50, v51, v50
	v_fma_f32 v51, 0x3f3d2fb0, v133, -v183
	v_dual_add_f32 v52, v163, v52 :: v_dual_add_f32 v53, v53, v2
	s_delay_alu instid0(VALU_DEP_2) | instskip(SKIP_1) | instid1(VALU_DEP_3)
	v_add_f32_e32 v50, v51, v50
	v_fma_f32 v51, 0xbf7ba420, v134, -v168
	v_add_f32_e32 v52, v164, v52
	s_delay_alu instid0(VALU_DEP_2) | instskip(SKIP_1) | instid1(VALU_DEP_1)
	v_add_f32_e32 v50, v51, v50
	v_fma_f32 v51, 0x3ee437d1, v135, -v173
	v_add_f32_e32 v2, v51, v50
	s_delay_alu instid0(VALU_DEP_4) | instskip(SKIP_3) | instid1(VALU_DEP_4)
	v_dual_add_f32 v50, v155, v52 :: v_dual_add_f32 v51, v54, v53
	v_add_f32_e32 v53, v88, v190
	v_fma_f32 v52, 0x3ee437d1, v131, -v191
	v_fma_f32 v54, 0x3dbcf732, v128, -v196
	v_add_f32_e32 v50, v156, v50
	s_delay_alu instid0(VALU_DEP_4) | instskip(NEXT) | instid1(VALU_DEP_4)
	v_add_f32_e32 v53, v192, v53
	v_add_f32_e32 v51, v52, v51
	v_fma_f32 v52, 0xbf7ba420, v132, -v193
	s_delay_alu instid0(VALU_DEP_4) | instskip(NEXT) | instid1(VALU_DEP_4)
	v_add_f32_e32 v50, v157, v50
	v_dual_add_f32 v54, v87, v54 :: v_dual_add_f32 v53, v194, v53
	v_fma_f32 v59, 0xbf59a7d5, v134, -v59
	s_delay_alu instid0(VALU_DEP_4) | instskip(SKIP_1) | instid1(VALU_DEP_4)
	v_add_f32_e32 v51, v52, v51
	v_fma_f32 v52, 0x3dbcf732, v133, -v195
	v_dual_add_f32 v50, v161, v50 :: v_dual_add_f32 v53, v178, v53
	s_delay_alu instid0(VALU_DEP_2) | instskip(NEXT) | instid1(VALU_DEP_2)
	v_add_f32_e32 v52, v52, v51
	v_add_f32_e32 v51, v152, v50
	s_delay_alu instid0(VALU_DEP_3) | instskip(SKIP_4) | instid1(VALU_DEP_3)
	v_add_f32_e32 v50, v180, v53
	v_add_f32_e32 v53, v56, v54
	v_fma_f32 v54, 0xbe8c1d8e, v130, -v198
	v_add_f32_e32 v52, v55, v52
	v_fma_f32 v55, 0xbf1a4643, v135, -v184
	v_dual_add_f32 v56, v181, v50 :: v_dual_add_f32 v53, v54, v53
	v_fma_f32 v54, 0x3f6eb680, v131, -v200
	s_delay_alu instid0(VALU_DEP_3) | instskip(NEXT) | instid1(VALU_DEP_3)
	v_add_f32_e32 v50, v55, v52
	v_add_f32_e32 v52, v176, v56
	v_fma_f32 v56, 0x3ee437d1, v128, -v209
	s_delay_alu instid0(VALU_DEP_4) | instskip(SKIP_1) | instid1(VALU_DEP_1)
	v_add_f32_e32 v53, v54, v53
	v_fma_f32 v54, 0x3ee437d1, v132, -v202
	v_dual_add_f32 v56, v87, v56 :: v_dual_add_f32 v53, v54, v53
	v_fma_f32 v54, 0xbf59a7d5, v133, -v204
	s_delay_alu instid0(VALU_DEP_2) | instskip(SKIP_1) | instid1(VALU_DEP_3)
	v_add_f32_e32 v56, v60, v56
	v_fma_f32 v60, 0xbf7ba420, v130, -v212
	v_dual_add_f32 v54, v54, v53 :: v_dual_add_f32 v53, v165, v52
	s_delay_alu instid0(VALU_DEP_1) | instskip(NEXT) | instid1(VALU_DEP_3)
	v_add_f32_e32 v52, v61, v54
	v_add_f32_e32 v54, v60, v56
	v_fma_f32 v56, 0xbe8c1d8e, v131, -v214
	v_fma_f32 v60, 0x3f3d2fb0, v135, -v208
	v_add_f32_e32 v61, v88, v213
	s_delay_alu instid0(VALU_DEP_3) | instskip(SKIP_1) | instid1(VALU_DEP_4)
	v_add_f32_e32 v54, v56, v54
	v_fma_f32 v56, 0x3f3d2fb0, v132, -v217
	v_add_f32_e32 v52, v60, v52
	s_delay_alu instid0(VALU_DEP_4) | instskip(SKIP_1) | instid1(VALU_DEP_4)
	v_add_f32_e32 v60, v216, v61
	v_fma_f32 v61, 0x3f3d2fb0, v128, -v224
	v_add_f32_e32 v54, v56, v54
	v_fma_f32 v56, 0x3f6eb680, v133, -v220
	s_delay_alu instid0(VALU_DEP_4) | instskip(NEXT) | instid1(VALU_DEP_2)
	v_add_f32_e32 v60, v219, v60
	v_add_f32_e32 v54, v56, v54
	v_fma_f32 v56, 0x3dbcf732, v134, -v222
	s_delay_alu instid0(VALU_DEP_3) | instskip(NEXT) | instid1(VALU_DEP_2)
	v_add_f32_e32 v60, v221, v60
	v_add_f32_e32 v54, v56, v54
	;; [unrolled: 1-line block ×3, first 2 shown]
	v_fma_f32 v61, 0x3dbcf732, v129, -v227
	s_delay_alu instid0(VALU_DEP_4) | instskip(NEXT) | instid1(VALU_DEP_4)
	v_add_f32_e32 v60, v223, v60
	v_add_f32_e32 v54, v64, v54
	v_fma_f32 v64, 0x3f6eb680, v128, -v139
	s_delay_alu instid0(VALU_DEP_4) | instskip(SKIP_2) | instid1(VALU_DEP_2)
	v_add_f32_e32 v56, v61, v56
	v_fma_f32 v61, 0xbf1a4643, v130, -v231
	v_add_f32_e32 v60, v177, v60
	v_add_f32_e32 v56, v61, v56
	v_fma_f32 v61, 0xbf7ba420, v131, -v229
	s_delay_alu instid0(VALU_DEP_3) | instskip(NEXT) | instid1(VALU_DEP_2)
	v_add_f32_e32 v60, v175, v60
	v_add_f32_e32 v56, v61, v56
	;; [unrolled: 1-line block ×3, first 2 shown]
	v_fma_f32 v64, 0x3f3d2fb0, v129, -v136
	s_delay_alu instid0(VALU_DEP_3) | instskip(SKIP_1) | instid1(VALU_DEP_3)
	v_dual_fmac_f32 v199, 0xbf65296c, v126 :: v_dual_add_f32 v56, v66, v56
	v_fma_f32 v66, 0xbe8c1d8e, v133, -v234
	v_add_f32_e32 v61, v64, v61
	v_fma_f32 v64, 0x3ee437d1, v130, -v71
	s_delay_alu instid0(VALU_DEP_4) | instskip(NEXT) | instid1(VALU_DEP_4)
	v_add_f32_e32 v55, v88, v199
	v_dual_fmac_f32 v201, 0xbf4c4adb, v123 :: v_dual_add_f32 v56, v66, v56
	s_delay_alu instid0(VALU_DEP_3) | instskip(NEXT) | instid1(VALU_DEP_2)
	v_add_f32_e32 v61, v64, v61
	v_dual_add_f32 v64, v235, v65 :: v_dual_add_f32 v55, v201, v55
	s_delay_alu instid0(VALU_DEP_2) | instskip(NEXT) | instid1(VALU_DEP_2)
	v_add_f32_e32 v58, v58, v61
	v_add_f32_e32 v64, v236, v64
	v_fma_f32 v61, 0xbe8c1d8e, v132, -v63
	v_fmac_f32_e32 v203, 0x3e3c28d5, v121
	v_fmac_f32_e32 v205, 0x3f763a35, v122
	v_fma_f32 v63, 0x3ee437d1, v134, -v228
	s_delay_alu instid0(VALU_DEP_3) | instskip(SKIP_3) | instid1(VALU_DEP_4)
	v_dual_add_f32 v58, v61, v58 :: v_dual_add_f32 v55, v203, v55
	v_fma_f32 v61, 0xbf1a4643, v133, -v62
	v_fmac_f32_e32 v207, 0x3f2c7751, v124
	v_add_f32_e32 v62, v148, v64
	v_dual_add_f32 v56, v63, v56 :: v_dual_add_f32 v55, v205, v55
	v_mul_lo_u16 v63, v107, 17
	v_add_f32_e32 v58, v61, v58
	v_fma_f32 v61, 0x3f6eb680, v135, -v226
	s_delay_alu instid0(VALU_DEP_4) | instskip(NEXT) | instid1(VALU_DEP_3)
	v_dual_add_f32 v62, v140, v62 :: v_dual_add_f32 v55, v207, v55
	v_dual_add_f32 v58, v59, v58 :: v_dual_and_b32 v63, 0xffff, v63
	s_delay_alu instid0(VALU_DEP_3) | instskip(SKIP_1) | instid1(VALU_DEP_4)
	v_add_f32_e32 v56, v61, v56
	v_fma_f32 v64, 0xbf7ba420, v135, -v57
	v_add_f32_e32 v55, v182, v55
	s_delay_alu instid0(VALU_DEP_4) | instskip(SKIP_2) | instid1(VALU_DEP_4)
	v_lshl_add_u32 v63, v63, 3, v108
	v_add_f32_e32 v57, v151, v60
	v_add_f32_e32 v59, v68, v62
	v_dual_add_f32 v58, v64, v58 :: v_dual_add_f32 v55, v210, v55
	s_delay_alu instid0(VALU_DEP_1)
	v_add_f32_e32 v55, v170, v55
	ds_store_2addr_b64 v63, v[0:1], v[48:49] offset1:1
	ds_store_2addr_b64 v63, v[146:147], v[103:104] offset0:2 offset1:3
	ds_store_2addr_b64 v63, v[101:102], v[99:100] offset0:4 offset1:5
	;; [unrolled: 1-line block ×7, first 2 shown]
	ds_store_b64 v63, v[58:59] offset:128
.LBB0_13:
	s_wait_alu 0xfffe
	s_or_b32 exec_lo, exec_lo, s0
	v_add_nc_u32_e32 v68, 0x800, v109
	v_add_nc_u32_e32 v69, 0x1800, v109
	global_wb scope:SCOPE_SE
	s_wait_dscnt 0x0
	s_barrier_signal -1
	s_barrier_wait -1
	global_inv scope:SCOPE_SE
	ds_load_2addr_b64 v[0:3], v68 offset0:152 offset1:254
	ds_load_2addr_b64 v[48:51], v69 offset0:48 offset1:150
	v_add_nc_u32_e32 v70, 0x1000, v109
	s_wait_dscnt 0x0
	v_dual_mul_f32 v74, v17, v1 :: v_dual_mul_f32 v87, v15, v51
	v_mul_f32_e32 v75, v19, v49
	v_mul_f32_e32 v19, v19, v48
	ds_load_2addr_b64 v[52:55], v70 offset0:100 offset1:202
	v_dual_mul_f32 v76, v13, v3 :: v_dual_add_nc_u32 v71, 0x1c00, v109
	v_dual_fmac_f32 v74, v16, v0 :: v_dual_add_nc_u32 v73, 0x400, v109
	s_delay_alu instid0(VALU_DEP_2)
	v_dual_mul_f32 v17, v17, v0 :: v_dual_fmac_f32 v76, v12, v2
	ds_load_2addr_b64 v[56:59], v109 offset1:102
	ds_load_2addr_b64 v[60:63], v71 offset0:124 offset1:226
	ds_load_2addr_b64 v[64:67], v73 offset0:76 offset1:178
	v_mul_f32_e32 v15, v15, v50
	v_fmac_f32_e32 v87, v14, v50
	v_fma_f32 v1, v16, v1, -v17
	v_fma_f32 v16, v18, v49, -v19
	global_wb scope:SCOPE_SE
	s_wait_dscnt 0x0
	s_barrier_signal -1
	s_barrier_wait -1
	global_inv scope:SCOPE_SE
	v_mul_f32_e32 v88, v9, v53
	v_mul_f32_e32 v13, v13, v2
	;; [unrolled: 1-line block ×3, first 2 shown]
	v_fmac_f32_e32 v75, v18, v48
	s_delay_alu instid0(VALU_DEP_4) | instskip(NEXT) | instid1(VALU_DEP_4)
	v_dual_mul_f32 v17, v5, v55 :: v_dual_fmac_f32 v88, v8, v52
	v_fma_f32 v12, v12, v3, -v13
	v_mul_f32_e32 v13, v11, v61
	v_mul_f32_e32 v2, v11, v60
	v_fma_f32 v11, v8, v53, -v0
	v_mul_f32_e32 v0, v5, v54
	v_mul_f32_e32 v18, v7, v63
	v_fma_f32 v9, v14, v51, -v15
	v_fma_f32 v15, v10, v61, -v2
	v_mul_f32_e32 v2, v7, v62
	v_fma_f32 v19, v4, v55, -v0
	v_add_f32_e32 v0, v74, v75
	v_fmac_f32_e32 v13, v10, v60
	v_dual_fmac_f32 v17, v4, v54 :: v_dual_add_f32 v4, v1, v16
	v_dual_fmac_f32 v18, v6, v62 :: v_dual_sub_f32 v5, v1, v16
	v_add_f32_e32 v3, v56, v74
	v_fma_f32 v0, -0.5, v0, v56
	v_fma_f32 v48, v6, v63, -v2
	v_sub_f32_e32 v6, v74, v75
	v_add_f32_e32 v7, v76, v87
	v_dual_add_f32 v2, v3, v75 :: v_dual_add_f32 v3, v57, v1
	v_fma_f32 v1, -0.5, v4, v57
	v_fmamk_f32 v4, v5, 0xbf5db3d7, v0
	v_fmac_f32_e32 v0, 0x3f5db3d7, v5
	v_add_f32_e32 v8, v58, v76
	s_delay_alu instid0(VALU_DEP_4)
	v_dual_add_f32 v10, v12, v9 :: v_dual_fmamk_f32 v5, v6, 0x3f5db3d7, v1
	v_fma_f32 v58, -0.5, v7, v58
	v_dual_sub_f32 v7, v12, v9 :: v_dual_add_f32 v12, v59, v12
	v_add_f32_e32 v3, v3, v16
	v_dual_fmac_f32 v1, 0xbf5db3d7, v6 :: v_dual_add_f32 v6, v8, v87
	v_dual_fmac_f32 v59, -0.5, v10 :: v_dual_sub_f32 v10, v76, v87
	s_delay_alu instid0(VALU_DEP_4)
	v_fmamk_f32 v8, v7, 0xbf5db3d7, v58
	v_dual_fmac_f32 v58, 0x3f5db3d7, v7 :: v_dual_add_f32 v7, v12, v9
	v_add_f32_e32 v12, v88, v13
	v_dual_add_f32 v16, v11, v15 :: v_dual_sub_f32 v51, v17, v18
	v_dual_fmamk_f32 v9, v10, 0x3f5db3d7, v59 :: v_dual_add_f32 v14, v64, v88
	v_sub_f32_e32 v49, v11, v15
	v_fmac_f32_e32 v59, 0xbf5db3d7, v10
	v_fma_f32 v10, -0.5, v12, v64
	v_add_f32_e32 v50, v65, v11
	v_fma_f32 v11, -0.5, v16, v65
	v_sub_f32_e32 v16, v88, v13
	v_add_f32_e32 v12, v14, v13
	v_fmamk_f32 v14, v49, 0xbf5db3d7, v10
	v_dual_fmac_f32 v10, 0x3f5db3d7, v49 :: v_dual_add_f32 v13, v50, v15
	v_add_f32_e32 v49, v17, v18
	v_fmamk_f32 v15, v16, 0x3f5db3d7, v11
	v_fmac_f32_e32 v11, 0xbf5db3d7, v16
	v_add_f32_e32 v16, v19, v48
	v_add_f32_e32 v50, v66, v17
	v_fma_f32 v66, -0.5, v49, v66
	v_sub_f32_e32 v49, v19, v48
	v_add_f32_e32 v19, v67, v19
	s_delay_alu instid0(VALU_DEP_4) | instskip(NEXT) | instid1(VALU_DEP_3)
	v_dual_fmac_f32 v67, -0.5, v16 :: v_dual_add_f32 v16, v50, v18
	v_fmamk_f32 v18, v49, 0xbf5db3d7, v66
	s_delay_alu instid0(VALU_DEP_3) | instskip(NEXT) | instid1(VALU_DEP_3)
	v_dual_fmac_f32 v66, 0x3f5db3d7, v49 :: v_dual_add_f32 v17, v19, v48
	v_fmamk_f32 v19, v51, 0x3f5db3d7, v67
	v_fmac_f32_e32 v67, 0xbf5db3d7, v51
	ds_store_2addr_b64 v114, v[2:3], v[4:5] offset1:17
	ds_store_b64 v114, v[0:1] offset:272
	ds_store_2addr_b64 v113, v[6:7], v[8:9] offset1:17
	ds_store_b64 v113, v[58:59] offset:272
	;; [unrolled: 2-line block ×4, first 2 shown]
	global_wb scope:SCOPE_SE
	s_wait_dscnt 0x0
	s_barrier_signal -1
	s_barrier_wait -1
	global_inv scope:SCOPE_SE
	ds_load_2addr_b64 v[0:3], v73 offset0:76 offset1:178
	ds_load_2addr_b64 v[4:7], v70 offset0:100 offset1:202
	;; [unrolled: 1-line block ×5, first 2 shown]
	ds_load_2addr_b64 v[48:51], v109 offset1:102
	global_wb scope:SCOPE_SE
	s_wait_dscnt 0x0
	s_barrier_signal -1
	s_barrier_wait -1
	global_inv scope:SCOPE_SE
	v_mul_f32_e32 v52, v29, v3
	v_mul_f32_e32 v53, v82, v11
	;; [unrolled: 1-line block ×3, first 2 shown]
	s_delay_alu instid0(VALU_DEP_3) | instskip(SKIP_4) | instid1(VALU_DEP_4)
	v_fmac_f32_e32 v52, v28, v2
	v_dual_mul_f32 v2, v29, v2 :: v_dual_mul_f32 v29, v31, v5
	v_mul_f32_e32 v31, v31, v4
	v_fmac_f32_e32 v53, v81, v10
	v_mul_f32_e32 v10, v25, v12
	v_fmac_f32_e32 v29, v30, v4
	v_fma_f32 v2, v28, v3, -v2
	v_fma_f32 v3, v30, v5, -v31
	v_mul_f32_e32 v5, v25, v13
	v_fma_f32 v4, v81, v11, -v54
	v_mul_f32_e32 v11, v27, v7
	v_mul_f32_e32 v25, v27, v6
	;; [unrolled: 1-line block ×3, first 2 shown]
	v_fmac_f32_e32 v5, v24, v12
	v_fma_f32 v10, v24, v13, -v10
	v_mul_f32_e32 v13, v21, v15
	v_dual_mul_f32 v12, v21, v14 :: v_dual_mul_f32 v21, v23, v8
	v_fmac_f32_e32 v11, v26, v6
	v_fma_f32 v6, v26, v7, -v25
	v_fmac_f32_e32 v27, v79, v16
	v_fmac_f32_e32 v13, v20, v14
	v_fma_f32 v14, v22, v9, -v21
	v_dual_mul_f32 v7, v80, v16 :: v_dual_mul_f32 v16, v23, v9
	v_fma_f32 v15, v20, v15, -v12
	v_sub_f32_e32 v12, v49, v3
	v_sub_f32_e32 v20, v2, v4
	s_delay_alu instid0(VALU_DEP_4) | instskip(SKIP_3) | instid1(VALU_DEP_4)
	v_fma_f32 v7, v79, v17, -v7
	v_fmac_f32_e32 v16, v22, v8
	v_dual_mul_f32 v17, v78, v19 :: v_dual_sub_f32 v8, v52, v53
	v_fma_f32 v22, v49, 2.0, -v12
	v_sub_f32_e32 v25, v10, v7
	v_fma_f32 v23, v2, 2.0, -v20
	s_delay_alu instid0(VALU_DEP_4) | instskip(SKIP_4) | instid1(VALU_DEP_4)
	v_fmac_f32_e32 v17, v77, v18
	v_mul_f32_e32 v21, v78, v18
	v_fma_f32 v3, v52, 2.0, -v8
	v_sub_f32_e32 v7, v12, v8
	v_fma_f32 v26, v10, 2.0, -v25
	v_fma_f32 v18, v77, v19, -v21
	v_sub_f32_e32 v9, v48, v29
	v_sub_f32_e32 v19, v50, v11
	v_fma_f32 v11, v12, 2.0, -v7
	s_delay_alu instid0(VALU_DEP_4) | instskip(NEXT) | instid1(VALU_DEP_4)
	v_sub_f32_e32 v18, v15, v18
	v_fma_f32 v4, v48, 2.0, -v9
	s_delay_alu instid0(VALU_DEP_4) | instskip(NEXT) | instid1(VALU_DEP_2)
	v_fma_f32 v24, v50, 2.0, -v19
	v_sub_f32_e32 v2, v4, v3
	v_sub_f32_e32 v21, v5, v27
	;; [unrolled: 1-line block ×3, first 2 shown]
	v_dual_sub_f32 v23, v51, v6 :: v_dual_add_f32 v6, v9, v20
	s_delay_alu instid0(VALU_DEP_4) | instskip(NEXT) | instid1(VALU_DEP_4)
	v_fma_f32 v4, v4, 2.0, -v2
	v_fma_f32 v5, v5, 2.0, -v21
	s_delay_alu instid0(VALU_DEP_3) | instskip(NEXT) | instid1(VALU_DEP_4)
	v_fma_f32 v20, v51, 2.0, -v23
	v_fma_f32 v10, v9, 2.0, -v6
	s_delay_alu instid0(VALU_DEP_3) | instskip(SKIP_1) | instid1(VALU_DEP_4)
	v_sub_f32_e32 v8, v24, v5
	v_fma_f32 v5, v22, 2.0, -v3
	v_sub_f32_e32 v9, v20, v26
	v_sub_f32_e32 v22, v0, v16
	s_delay_alu instid0(VALU_DEP_4)
	v_fma_f32 v12, v24, 2.0, -v8
	v_sub_f32_e32 v24, v1, v14
	v_add_f32_e32 v14, v19, v25
	v_sub_f32_e32 v26, v13, v17
	v_fma_f32 v25, v0, 2.0, -v22
	v_fma_f32 v17, v15, 2.0, -v18
	;; [unrolled: 1-line block ×3, first 2 shown]
	v_add_f32_e32 v18, v22, v18
	v_fma_f32 v1, v13, 2.0, -v26
	v_sub_f32_e32 v15, v23, v21
	v_fma_f32 v13, v20, 2.0, -v9
	v_sub_f32_e32 v17, v27, v17
	;; [unrolled: 2-line block ×4, first 2 shown]
	v_fma_f32 v1, v23, 2.0, -v15
	v_fma_f32 v21, v27, 2.0, -v17
	;; [unrolled: 1-line block ×3, first 2 shown]
	s_delay_alu instid0(VALU_DEP_4)
	v_fma_f32 v23, v24, 2.0, -v19
	ds_store_2addr_b64 v118, v[4:5], v[10:11] offset1:51
	ds_store_2addr_b64 v118, v[2:3], v[6:7] offset0:102 offset1:153
	ds_store_2addr_b64 v117, v[12:13], v[0:1] offset1:51
	ds_store_2addr_b64 v117, v[8:9], v[14:15] offset0:102 offset1:153
	;; [unrolled: 2-line block ×3, first 2 shown]
	global_wb scope:SCOPE_SE
	s_wait_dscnt 0x0
	s_barrier_signal -1
	s_barrier_wait -1
	global_inv scope:SCOPE_SE
	ds_load_2addr_b64 v[0:3], v73 offset0:76 offset1:178
	ds_load_2addr_b64 v[4:7], v68 offset0:152 offset1:254
	;; [unrolled: 1-line block ×5, first 2 shown]
	ds_load_2addr_b64 v[20:23], v109 offset1:102
	s_wait_dscnt 0x5
	v_mul_f32_e32 v24, v45, v1
	s_wait_dscnt 0x4
	v_dual_mul_f32 v25, v45, v0 :: v_dual_mul_f32 v26, v47, v5
	v_mul_f32_e32 v27, v41, v3
	s_wait_dscnt 0x3
	v_mul_f32_e32 v28, v33, v11
	v_fmac_f32_e32 v24, v44, v0
	v_mul_f32_e32 v0, v47, v4
	v_fma_f32 v1, v44, v1, -v25
	v_dual_mul_f32 v25, v37, v9 :: v_dual_fmac_f32 v26, v46, v4
	v_mul_f32_e32 v4, v37, v8
	s_delay_alu instid0(VALU_DEP_4)
	v_fma_f32 v0, v46, v5, -v0
	s_wait_dscnt 0x2
	v_mul_f32_e32 v5, v39, v13
	v_fmac_f32_e32 v25, v36, v8
	v_mul_f32_e32 v8, v39, v12
	v_fmac_f32_e32 v28, v32, v10
	v_fma_f32 v4, v36, v9, -v4
	v_fmac_f32_e32 v5, v38, v12
	v_fmac_f32_e32 v27, v40, v2
	v_fma_f32 v8, v38, v13, -v8
	v_mul_f32_e32 v13, v41, v2
	s_wait_dscnt 0x1
	v_dual_mul_f32 v2, v43, v6 :: v_dual_mul_f32 v9, v86, v17
	v_mul_f32_e32 v30, v35, v15
	v_mul_f32_e32 v12, v86, v16
	s_delay_alu instid0(VALU_DEP_3) | instskip(SKIP_1) | instid1(VALU_DEP_4)
	v_fma_f32 v29, v42, v7, -v2
	v_mul_f32_e32 v2, v35, v14
	v_fmac_f32_e32 v30, v34, v14
	s_delay_alu instid0(VALU_DEP_4) | instskip(SKIP_1) | instid1(VALU_DEP_4)
	v_fma_f32 v12, v85, v17, -v12
	v_dual_fmac_f32 v9, v85, v16 :: v_dual_mul_f32 v16, v43, v7
	v_fma_f32 v14, v34, v15, -v2
	v_add_f32_e32 v2, v26, v5
	v_fma_f32 v17, v40, v3, -v13
	v_mul_f32_e32 v3, v33, v10
	v_dual_fmac_f32 v16, v42, v6 :: v_dual_add_f32 v7, v24, v25
	s_delay_alu instid0(VALU_DEP_2)
	v_fma_f32 v31, v32, v11, -v3
	v_mul_f32_e32 v3, v84, v18
	v_mul_f32_e32 v32, v84, v19
	s_wait_dscnt 0x0
	v_fma_f32 v11, -0.5, v2, v20
	v_sub_f32_e32 v2, v0, v8
	v_fma_f32 v15, v83, v19, -v3
	v_add_f32_e32 v3, v0, v8
	v_add_f32_e32 v0, v21, v0
	v_fmac_f32_e32 v32, v83, v18
	v_fmamk_f32 v18, v2, 0xbf5db3d7, v11
	v_dual_fmac_f32 v11, 0x3f5db3d7, v2 :: v_dual_add_f32 v2, v4, v12
	v_fma_f32 v13, -0.5, v3, v21
	v_dual_sub_f32 v3, v26, v5 :: v_dual_add_f32 v6, v20, v26
	s_delay_alu instid0(VALU_DEP_1) | instskip(NEXT) | instid1(VALU_DEP_2)
	v_dual_add_f32 v0, v0, v8 :: v_dual_fmamk_f32 v19, v3, 0x3f5db3d7, v13
	v_add_f32_e32 v10, v6, v5
	v_add_f32_e32 v5, v25, v9
	v_dual_add_f32 v6, v1, v4 :: v_dual_fmac_f32 v1, -0.5, v2
	v_dual_sub_f32 v2, v25, v9 :: v_dual_fmac_f32 v13, 0xbf5db3d7, v3
	s_delay_alu instid0(VALU_DEP_3) | instskip(SKIP_1) | instid1(VALU_DEP_4)
	v_fmac_f32_e32 v24, -0.5, v5
	v_sub_f32_e32 v4, v4, v12
	v_add_f32_e32 v21, v6, v12
	s_delay_alu instid0(VALU_DEP_4) | instskip(SKIP_1) | instid1(VALU_DEP_4)
	v_fmamk_f32 v3, v2, 0x3f5db3d7, v1
	v_dual_fmac_f32 v1, 0xbf5db3d7, v2 :: v_dual_add_f32 v8, v7, v9
	v_fmamk_f32 v5, v4, 0xbf5db3d7, v24
	s_delay_alu instid0(VALU_DEP_3) | instskip(NEXT) | instid1(VALU_DEP_3)
	v_dual_fmac_f32 v24, 0x3f5db3d7, v4 :: v_dual_mul_f32 v25, 0.5, v3
	v_dual_mul_f32 v9, 0xbf5db3d7, v3 :: v_dual_mul_f32 v20, 0xbf5db3d7, v1
	s_delay_alu instid0(VALU_DEP_4) | instskip(SKIP_1) | instid1(VALU_DEP_3)
	v_dual_mul_f32 v1, -0.5, v1 :: v_dual_add_f32 v2, v10, v8
	v_dual_add_f32 v3, v0, v21 :: v_dual_sub_f32 v8, v10, v8
	v_dual_fmac_f32 v9, 0.5, v5 :: v_dual_fmac_f32 v20, -0.5, v24
	v_fmac_f32_e32 v25, 0x3f5db3d7, v5
	s_delay_alu instid0(VALU_DEP_4)
	v_fmac_f32_e32 v1, 0x3f5db3d7, v24
	ds_store_b64 v115, v[2:3]
	v_add_f32_e32 v4, v18, v9
	v_add_f32_e32 v6, v11, v20
	;; [unrolled: 1-line block ×3, first 2 shown]
	v_dual_add_f32 v7, v13, v1 :: v_dual_sub_f32 v12, v11, v20
	v_sub_f32_e32 v10, v18, v9
	v_dual_add_f32 v18, v22, v16 :: v_dual_sub_f32 v9, v0, v21
	v_dual_add_f32 v0, v16, v30 :: v_dual_sub_f32 v13, v13, v1
	v_add_f32_e32 v1, v29, v14
	s_delay_alu instid0(VALU_DEP_3) | instskip(SKIP_1) | instid1(VALU_DEP_4)
	v_add_f32_e32 v20, v18, v30
	v_add_f32_e32 v18, v23, v29
	v_fma_f32 v0, -0.5, v0, v22
	v_sub_f32_e32 v11, v19, v25
	v_sub_f32_e32 v19, v29, v14
	v_fmac_f32_e32 v23, -0.5, v1
	v_dual_sub_f32 v1, v16, v30 :: v_dual_add_f32 v16, v31, v15
	v_add_f32_e32 v25, v18, v14
	s_delay_alu instid0(VALU_DEP_4) | instskip(NEXT) | instid1(VALU_DEP_3)
	v_dual_fmamk_f32 v21, v19, 0xbf5db3d7, v0 :: v_dual_add_f32 v14, v28, v32
	v_dual_add_f32 v18, v17, v31 :: v_dual_fmac_f32 v17, -0.5, v16
	v_sub_f32_e32 v16, v28, v32
	v_fmac_f32_e32 v0, 0x3f5db3d7, v19
	v_dual_fmamk_f32 v26, v1, 0x3f5db3d7, v23 :: v_dual_add_f32 v19, v27, v28
	v_dual_fmac_f32 v27, -0.5, v14 :: v_dual_sub_f32 v14, v31, v15
	v_fmac_f32_e32 v23, 0xbf5db3d7, v1
	v_fmamk_f32 v1, v16, 0x3f5db3d7, v17
	v_fmac_f32_e32 v17, 0xbf5db3d7, v16
	v_add_f32_e32 v29, v18, v15
	v_fmamk_f32 v16, v14, 0xbf5db3d7, v27
	v_add_f32_e32 v22, v19, v32
	v_add_nc_u32_e32 v2, 0x600, v119
	v_mul_f32_e32 v30, -0.5, v17
	v_mul_f32_e32 v24, 0xbf5db3d7, v1
	v_mul_f32_e32 v28, 0xbf5db3d7, v17
	v_add_f32_e32 v15, v25, v29
	s_delay_alu instid0(VALU_DEP_3) | instskip(SKIP_2) | instid1(VALU_DEP_1)
	v_dual_fmac_f32 v24, 0.5, v16 :: v_dual_add_nc_u32 v3, 0x1200, v119
	v_fmac_f32_e32 v27, 0x3f5db3d7, v14
	v_dual_mul_f32 v1, 0.5, v1 :: v_dual_add_f32 v14, v20, v22
	v_dual_sub_f32 v20, v20, v22 :: v_dual_fmac_f32 v1, 0x3f5db3d7, v16
	s_delay_alu instid0(VALU_DEP_4) | instskip(NEXT) | instid1(VALU_DEP_4)
	v_add_f32_e32 v16, v21, v24
	v_fmac_f32_e32 v28, -0.5, v27
	v_fmac_f32_e32 v30, 0x3f5db3d7, v27
	s_delay_alu instid0(VALU_DEP_4) | instskip(NEXT) | instid1(VALU_DEP_3)
	v_dual_sub_f32 v24, v21, v24 :: v_dual_add_f32 v17, v26, v1
	v_dual_sub_f32 v21, v25, v29 :: v_dual_add_f32 v18, v0, v28
	s_delay_alu instid0(VALU_DEP_3)
	v_dual_add_f32 v19, v23, v30 :: v_dual_sub_f32 v22, v0, v28
	v_sub_f32_e32 v25, v26, v1
	v_add_nc_u32_e32 v1, 0xc00, v110
	v_add_nc_u32_e32 v0, 0x1800, v110
	v_sub_f32_e32 v23, v23, v30
	ds_store_2addr_b64 v1, v[6:7], v[8:9] offset0:24 offset1:228
	ds_store_2addr_b64 v0, v[10:11], v[12:13] offset0:48 offset1:252
	;; [unrolled: 1-line block ×5, first 2 shown]
	ds_store_b64 v119, v[22:23] offset:8160
	global_wb scope:SCOPE_SE
	s_wait_dscnt 0x0
	s_barrier_signal -1
	s_barrier_wait -1
	global_inv scope:SCOPE_SE
	s_and_b32 exec_lo, exec_lo, vcc_lo
	s_cbranch_execz .LBB0_15
; %bb.14:
	global_load_b64 v[2:3], v106, s[12:13]
	ds_load_b64 v[4:5], v115
	v_mad_co_u64_u32 v[8:9], null, s4, v107, 0
	s_mov_b32 s0, 0x1ac5701b
	s_mov_b32 s1, 0x3f4ac570
	s_mul_u64 s[2:3], s[4:5], 0x240
	s_wait_loadcnt_dscnt 0x0
	v_mul_f32_e32 v6, v5, v3
	v_mul_f32_e32 v3, v4, v3
	s_delay_alu instid0(VALU_DEP_2) | instskip(NEXT) | instid1(VALU_DEP_2)
	v_fmac_f32_e32 v6, v4, v2
	v_fma_f32 v4, v2, v5, -v3
	s_delay_alu instid0(VALU_DEP_2) | instskip(NEXT) | instid1(VALU_DEP_2)
	v_cvt_f64_f32_e32 v[2:3], v6
	v_cvt_f64_f32_e32 v[4:5], v4
	v_mad_co_u64_u32 v[6:7], null, s6, v72, 0
	s_wait_alu 0xfffe
	s_delay_alu instid0(VALU_DEP_3) | instskip(NEXT) | instid1(VALU_DEP_3)
	v_mul_f64_e32 v[2:3], s[0:1], v[2:3]
	v_mul_f64_e32 v[4:5], s[0:1], v[4:5]
	s_delay_alu instid0(VALU_DEP_2) | instskip(NEXT) | instid1(VALU_DEP_2)
	v_cvt_f32_f64_e32 v2, v[2:3]
	v_cvt_f32_f64_e32 v3, v[4:5]
	v_dual_mov_b32 v5, v9 :: v_dual_mov_b32 v4, v7
	s_delay_alu instid0(VALU_DEP_1) | instskip(SKIP_1) | instid1(VALU_DEP_2)
	v_mad_co_u64_u32 v[9:10], null, s7, v72, v[4:5]
	v_mad_co_u64_u32 v[4:5], null, s5, v107, v[5:6]
	v_mov_b32_e32 v7, v9
	s_delay_alu instid0(VALU_DEP_2) | instskip(NEXT) | instid1(VALU_DEP_2)
	v_mov_b32_e32 v9, v4
	v_lshlrev_b64_e32 v[4:5], 3, v[6:7]
	s_delay_alu instid0(VALU_DEP_2) | instskip(NEXT) | instid1(VALU_DEP_2)
	v_lshlrev_b64_e32 v[6:7], 3, v[8:9]
	v_add_co_u32 v10, vcc_lo, s14, v4
	s_wait_alu 0xfffd
	s_delay_alu instid0(VALU_DEP_3) | instskip(NEXT) | instid1(VALU_DEP_2)
	v_add_co_ci_u32_e32 v11, vcc_lo, s15, v5, vcc_lo
	v_add_co_u32 v6, vcc_lo, v10, v6
	s_wait_alu 0xfffd
	s_delay_alu instid0(VALU_DEP_2)
	v_add_co_ci_u32_e32 v7, vcc_lo, v11, v7, vcc_lo
	global_store_b64 v[6:7], v[2:3], off
	global_load_b64 v[8:9], v106, s[12:13] offset:576
	ds_load_2addr_b64 v[2:5], v110 offset0:72 offset1:144
	v_add_co_u32 v6, vcc_lo, v6, s2
	s_wait_alu 0xfffd
	v_add_co_ci_u32_e32 v7, vcc_lo, s3, v7, vcc_lo
	s_wait_loadcnt_dscnt 0x0
	v_mul_f32_e32 v12, v3, v9
	v_mul_f32_e32 v9, v2, v9
	s_delay_alu instid0(VALU_DEP_2) | instskip(NEXT) | instid1(VALU_DEP_2)
	v_fmac_f32_e32 v12, v2, v8
	v_fma_f32 v8, v8, v3, -v9
	s_delay_alu instid0(VALU_DEP_2) | instskip(NEXT) | instid1(VALU_DEP_2)
	v_cvt_f64_f32_e32 v[2:3], v12
	v_cvt_f64_f32_e32 v[8:9], v8
	s_delay_alu instid0(VALU_DEP_2) | instskip(NEXT) | instid1(VALU_DEP_2)
	v_mul_f64_e32 v[2:3], s[0:1], v[2:3]
	v_mul_f64_e32 v[8:9], s[0:1], v[8:9]
	s_delay_alu instid0(VALU_DEP_2) | instskip(NEXT) | instid1(VALU_DEP_2)
	v_cvt_f32_f64_e32 v2, v[2:3]
	v_cvt_f32_f64_e32 v3, v[8:9]
	global_store_b64 v[6:7], v[2:3], off
	global_load_b64 v[2:3], v106, s[12:13] offset:1152
	v_add_co_u32 v6, vcc_lo, v6, s2
	s_wait_alu 0xfffd
	v_add_co_ci_u32_e32 v7, vcc_lo, s3, v7, vcc_lo
	s_wait_loadcnt 0x0
	v_mul_f32_e32 v8, v5, v3
	v_mul_f32_e32 v3, v4, v3
	s_delay_alu instid0(VALU_DEP_2) | instskip(NEXT) | instid1(VALU_DEP_2)
	v_fmac_f32_e32 v8, v4, v2
	v_fma_f32 v4, v2, v5, -v3
	s_delay_alu instid0(VALU_DEP_2) | instskip(NEXT) | instid1(VALU_DEP_2)
	v_cvt_f64_f32_e32 v[2:3], v8
	v_cvt_f64_f32_e32 v[4:5], v4
	s_delay_alu instid0(VALU_DEP_2) | instskip(NEXT) | instid1(VALU_DEP_2)
	v_mul_f64_e32 v[2:3], s[0:1], v[2:3]
	v_mul_f64_e32 v[4:5], s[0:1], v[4:5]
	s_delay_alu instid0(VALU_DEP_2) | instskip(NEXT) | instid1(VALU_DEP_2)
	v_cvt_f32_f64_e32 v2, v[2:3]
	v_cvt_f32_f64_e32 v3, v[4:5]
	global_store_b64 v[6:7], v[2:3], off
	global_load_b64 v[8:9], v106, s[12:13] offset:1728
	v_add_nc_u32_e32 v2, 0x400, v110
	v_add_co_u32 v6, vcc_lo, v6, s2
	s_wait_alu 0xfffd
	v_add_co_ci_u32_e32 v7, vcc_lo, s3, v7, vcc_lo
	ds_load_2addr_b64 v[2:5], v2 offset0:88 offset1:160
	s_wait_loadcnt_dscnt 0x0
	v_mul_f32_e32 v12, v3, v9
	v_mul_f32_e32 v9, v2, v9
	s_delay_alu instid0(VALU_DEP_2) | instskip(NEXT) | instid1(VALU_DEP_2)
	v_fmac_f32_e32 v12, v2, v8
	v_fma_f32 v8, v8, v3, -v9
	s_delay_alu instid0(VALU_DEP_2) | instskip(NEXT) | instid1(VALU_DEP_2)
	v_cvt_f64_f32_e32 v[2:3], v12
	v_cvt_f64_f32_e32 v[8:9], v8
	s_delay_alu instid0(VALU_DEP_2) | instskip(NEXT) | instid1(VALU_DEP_2)
	v_mul_f64_e32 v[2:3], s[0:1], v[2:3]
	v_mul_f64_e32 v[8:9], s[0:1], v[8:9]
	s_delay_alu instid0(VALU_DEP_2) | instskip(NEXT) | instid1(VALU_DEP_2)
	v_cvt_f32_f64_e32 v2, v[2:3]
	v_cvt_f32_f64_e32 v3, v[8:9]
	global_store_b64 v[6:7], v[2:3], off
	global_load_b64 v[2:3], v106, s[12:13] offset:2304
	v_add_co_u32 v6, vcc_lo, v6, s2
	s_wait_alu 0xfffd
	v_add_co_ci_u32_e32 v7, vcc_lo, s3, v7, vcc_lo
	s_wait_loadcnt 0x0
	v_mul_f32_e32 v8, v5, v3
	v_mul_f32_e32 v3, v4, v3
	s_delay_alu instid0(VALU_DEP_2) | instskip(NEXT) | instid1(VALU_DEP_2)
	v_fmac_f32_e32 v8, v4, v2
	v_fma_f32 v4, v2, v5, -v3
	s_delay_alu instid0(VALU_DEP_2) | instskip(NEXT) | instid1(VALU_DEP_2)
	v_cvt_f64_f32_e32 v[2:3], v8
	v_cvt_f64_f32_e32 v[4:5], v4
	s_delay_alu instid0(VALU_DEP_2) | instskip(NEXT) | instid1(VALU_DEP_2)
	v_mul_f64_e32 v[2:3], s[0:1], v[2:3]
	v_mul_f64_e32 v[4:5], s[0:1], v[4:5]
	s_delay_alu instid0(VALU_DEP_2) | instskip(NEXT) | instid1(VALU_DEP_2)
	v_cvt_f32_f64_e32 v2, v[2:3]
	v_cvt_f32_f64_e32 v3, v[4:5]
	global_store_b64 v[6:7], v[2:3], off
	global_load_b64 v[8:9], v106, s[12:13] offset:2880
	v_add_nc_u32_e32 v2, 0x800, v110
	v_add_co_u32 v6, vcc_lo, v6, s2
	s_wait_alu 0xfffd
	v_add_co_ci_u32_e32 v7, vcc_lo, s3, v7, vcc_lo
	ds_load_2addr_b64 v[2:5], v2 offset0:104 offset1:176
	s_wait_loadcnt_dscnt 0x0
	v_mul_f32_e32 v12, v3, v9
	v_mul_f32_e32 v9, v2, v9
	s_delay_alu instid0(VALU_DEP_2) | instskip(NEXT) | instid1(VALU_DEP_2)
	v_fmac_f32_e32 v12, v2, v8
	v_fma_f32 v8, v8, v3, -v9
	s_delay_alu instid0(VALU_DEP_2) | instskip(NEXT) | instid1(VALU_DEP_2)
	v_cvt_f64_f32_e32 v[2:3], v12
	v_cvt_f64_f32_e32 v[8:9], v8
	s_delay_alu instid0(VALU_DEP_2) | instskip(NEXT) | instid1(VALU_DEP_2)
	v_mul_f64_e32 v[2:3], s[0:1], v[2:3]
	v_mul_f64_e32 v[8:9], s[0:1], v[8:9]
	s_delay_alu instid0(VALU_DEP_2) | instskip(NEXT) | instid1(VALU_DEP_2)
	v_cvt_f32_f64_e32 v2, v[2:3]
	v_cvt_f32_f64_e32 v3, v[8:9]
	global_store_b64 v[6:7], v[2:3], off
	global_load_b64 v[2:3], v106, s[12:13] offset:3456
	s_wait_loadcnt 0x0
	v_mul_f32_e32 v8, v5, v3
	v_mul_f32_e32 v3, v4, v3
	s_delay_alu instid0(VALU_DEP_2) | instskip(NEXT) | instid1(VALU_DEP_2)
	v_fmac_f32_e32 v8, v4, v2
	v_fma_f32 v4, v2, v5, -v3
	s_delay_alu instid0(VALU_DEP_2) | instskip(NEXT) | instid1(VALU_DEP_2)
	v_cvt_f64_f32_e32 v[2:3], v8
	v_cvt_f64_f32_e32 v[4:5], v4
	s_delay_alu instid0(VALU_DEP_2) | instskip(NEXT) | instid1(VALU_DEP_2)
	v_mul_f64_e32 v[2:3], s[0:1], v[2:3]
	v_mul_f64_e32 v[4:5], s[0:1], v[4:5]
	s_delay_alu instid0(VALU_DEP_2) | instskip(NEXT) | instid1(VALU_DEP_2)
	v_cvt_f32_f64_e32 v2, v[2:3]
	v_cvt_f32_f64_e32 v3, v[4:5]
	v_add_co_u32 v5, vcc_lo, v6, s2
	s_wait_alu 0xfffd
	v_add_co_ci_u32_e32 v6, vcc_lo, s3, v7, vcc_lo
	global_store_b64 v[5:6], v[2:3], off
	global_load_b64 v[7:8], v106, s[12:13] offset:4032
	ds_load_2addr_b64 v[1:4], v1 offset0:120 offset1:192
	v_add_co_u32 v5, vcc_lo, v5, s2
	s_wait_alu 0xfffd
	v_add_co_ci_u32_e32 v6, vcc_lo, s3, v6, vcc_lo
	s_wait_loadcnt_dscnt 0x0
	v_mul_f32_e32 v9, v2, v8
	v_mul_f32_e32 v8, v1, v8
	s_delay_alu instid0(VALU_DEP_2) | instskip(NEXT) | instid1(VALU_DEP_2)
	v_fmac_f32_e32 v9, v1, v7
	v_fma_f32 v7, v7, v2, -v8
	s_delay_alu instid0(VALU_DEP_2) | instskip(NEXT) | instid1(VALU_DEP_2)
	v_cvt_f64_f32_e32 v[1:2], v9
	v_cvt_f64_f32_e32 v[7:8], v7
	s_delay_alu instid0(VALU_DEP_2) | instskip(NEXT) | instid1(VALU_DEP_2)
	v_mul_f64_e32 v[1:2], s[0:1], v[1:2]
	v_mul_f64_e32 v[7:8], s[0:1], v[7:8]
	s_delay_alu instid0(VALU_DEP_2) | instskip(NEXT) | instid1(VALU_DEP_2)
	v_cvt_f32_f64_e32 v1, v[1:2]
	v_cvt_f32_f64_e32 v2, v[7:8]
	global_store_b64 v[5:6], v[1:2], off
	global_load_b64 v[1:2], v106, s[12:13] offset:4608
	v_add_co_u32 v5, vcc_lo, v5, s2
	s_wait_alu 0xfffd
	v_add_co_ci_u32_e32 v6, vcc_lo, s3, v6, vcc_lo
	s_wait_loadcnt 0x0
	v_mul_f32_e32 v7, v4, v2
	v_mul_f32_e32 v2, v3, v2
	s_delay_alu instid0(VALU_DEP_2) | instskip(NEXT) | instid1(VALU_DEP_2)
	v_fmac_f32_e32 v7, v3, v1
	v_fma_f32 v3, v1, v4, -v2
	s_delay_alu instid0(VALU_DEP_2) | instskip(NEXT) | instid1(VALU_DEP_2)
	v_cvt_f64_f32_e32 v[1:2], v7
	v_cvt_f64_f32_e32 v[3:4], v3
	s_delay_alu instid0(VALU_DEP_2) | instskip(NEXT) | instid1(VALU_DEP_2)
	v_mul_f64_e32 v[1:2], s[0:1], v[1:2]
	v_mul_f64_e32 v[3:4], s[0:1], v[3:4]
	s_delay_alu instid0(VALU_DEP_2) | instskip(NEXT) | instid1(VALU_DEP_2)
	v_cvt_f32_f64_e32 v1, v[1:2]
	v_cvt_f32_f64_e32 v2, v[3:4]
	global_store_b64 v[5:6], v[1:2], off
	global_load_b64 v[7:8], v106, s[12:13] offset:5184
	v_add_nc_u32_e32 v1, 0x1000, v110
	v_add_co_u32 v5, vcc_lo, v5, s2
	s_wait_alu 0xfffd
	v_add_co_ci_u32_e32 v6, vcc_lo, s3, v6, vcc_lo
	ds_load_2addr_b64 v[1:4], v1 offset0:136 offset1:208
	s_wait_loadcnt_dscnt 0x0
	v_mul_f32_e32 v9, v2, v8
	v_mul_f32_e32 v8, v1, v8
	s_delay_alu instid0(VALU_DEP_2) | instskip(NEXT) | instid1(VALU_DEP_2)
	v_fmac_f32_e32 v9, v1, v7
	v_fma_f32 v7, v7, v2, -v8
	s_delay_alu instid0(VALU_DEP_2) | instskip(NEXT) | instid1(VALU_DEP_2)
	v_cvt_f64_f32_e32 v[1:2], v9
	v_cvt_f64_f32_e32 v[7:8], v7
	s_delay_alu instid0(VALU_DEP_2) | instskip(NEXT) | instid1(VALU_DEP_2)
	v_mul_f64_e32 v[1:2], s[0:1], v[1:2]
	v_mul_f64_e32 v[7:8], s[0:1], v[7:8]
	s_delay_alu instid0(VALU_DEP_2) | instskip(NEXT) | instid1(VALU_DEP_2)
	v_cvt_f32_f64_e32 v1, v[1:2]
	v_cvt_f32_f64_e32 v2, v[7:8]
	global_store_b64 v[5:6], v[1:2], off
	global_load_b64 v[1:2], v106, s[12:13] offset:5760
	v_add_co_u32 v5, vcc_lo, v5, s2
	s_wait_alu 0xfffd
	v_add_co_ci_u32_e32 v6, vcc_lo, s3, v6, vcc_lo
	s_wait_loadcnt 0x0
	v_mul_f32_e32 v7, v4, v2
	v_mul_f32_e32 v2, v3, v2
	s_delay_alu instid0(VALU_DEP_2) | instskip(NEXT) | instid1(VALU_DEP_2)
	v_fmac_f32_e32 v7, v3, v1
	v_fma_f32 v3, v1, v4, -v2
	s_delay_alu instid0(VALU_DEP_2) | instskip(NEXT) | instid1(VALU_DEP_2)
	v_cvt_f64_f32_e32 v[1:2], v7
	v_cvt_f64_f32_e32 v[3:4], v3
	s_delay_alu instid0(VALU_DEP_2) | instskip(NEXT) | instid1(VALU_DEP_2)
	v_mul_f64_e32 v[1:2], s[0:1], v[1:2]
	v_mul_f64_e32 v[3:4], s[0:1], v[3:4]
	s_delay_alu instid0(VALU_DEP_2) | instskip(NEXT) | instid1(VALU_DEP_2)
	v_cvt_f32_f64_e32 v1, v[1:2]
	v_cvt_f32_f64_e32 v2, v[3:4]
	global_store_b64 v[5:6], v[1:2], off
	global_load_b64 v[7:8], v106, s[12:13] offset:6336
	ds_load_2addr_b64 v[1:4], v0 offset0:24 offset1:96
	v_add_co_u32 v5, vcc_lo, v5, s2
	s_wait_alu 0xfffd
	v_add_co_ci_u32_e32 v6, vcc_lo, s3, v6, vcc_lo
	s_wait_loadcnt_dscnt 0x0
	v_mul_f32_e32 v9, v2, v8
	v_mul_f32_e32 v8, v1, v8
	s_delay_alu instid0(VALU_DEP_2) | instskip(NEXT) | instid1(VALU_DEP_2)
	v_fmac_f32_e32 v9, v1, v7
	v_fma_f32 v7, v7, v2, -v8
	s_delay_alu instid0(VALU_DEP_2) | instskip(NEXT) | instid1(VALU_DEP_2)
	v_cvt_f64_f32_e32 v[1:2], v9
	v_cvt_f64_f32_e32 v[7:8], v7
	s_delay_alu instid0(VALU_DEP_2) | instskip(NEXT) | instid1(VALU_DEP_2)
	v_mul_f64_e32 v[1:2], s[0:1], v[1:2]
	v_mul_f64_e32 v[7:8], s[0:1], v[7:8]
	s_delay_alu instid0(VALU_DEP_2) | instskip(NEXT) | instid1(VALU_DEP_2)
	v_cvt_f32_f64_e32 v1, v[1:2]
	v_cvt_f32_f64_e32 v2, v[7:8]
	global_store_b64 v[5:6], v[1:2], off
	global_load_b64 v[1:2], v106, s[12:13] offset:6912
	s_wait_loadcnt 0x0
	v_mul_f32_e32 v7, v4, v2
	v_mul_f32_e32 v2, v3, v2
	s_delay_alu instid0(VALU_DEP_2) | instskip(NEXT) | instid1(VALU_DEP_2)
	v_fmac_f32_e32 v7, v3, v1
	v_fma_f32 v3, v1, v4, -v2
	s_delay_alu instid0(VALU_DEP_2) | instskip(NEXT) | instid1(VALU_DEP_2)
	v_cvt_f64_f32_e32 v[1:2], v7
	v_cvt_f64_f32_e32 v[3:4], v3
	s_delay_alu instid0(VALU_DEP_2) | instskip(NEXT) | instid1(VALU_DEP_2)
	v_mul_f64_e32 v[1:2], s[0:1], v[1:2]
	v_mul_f64_e32 v[3:4], s[0:1], v[3:4]
	s_delay_alu instid0(VALU_DEP_2) | instskip(NEXT) | instid1(VALU_DEP_2)
	v_cvt_f32_f64_e32 v1, v[1:2]
	v_cvt_f32_f64_e32 v2, v[3:4]
	v_add_co_u32 v4, vcc_lo, v5, s2
	s_wait_alu 0xfffd
	v_add_co_ci_u32_e32 v5, vcc_lo, s3, v6, vcc_lo
	global_store_b64 v[4:5], v[1:2], off
	global_load_b64 v[6:7], v106, s[12:13] offset:7488
	ds_load_2addr_b64 v[0:3], v0 offset0:168 offset1:240
	v_add_co_u32 v4, vcc_lo, v4, s2
	s_wait_alu 0xfffd
	v_add_co_ci_u32_e32 v5, vcc_lo, s3, v5, vcc_lo
	s_wait_loadcnt_dscnt 0x0
	v_mul_f32_e32 v8, v1, v7
	v_mul_f32_e32 v7, v0, v7
	s_delay_alu instid0(VALU_DEP_2) | instskip(NEXT) | instid1(VALU_DEP_2)
	v_fmac_f32_e32 v8, v0, v6
	v_fma_f32 v6, v6, v1, -v7
	s_delay_alu instid0(VALU_DEP_2) | instskip(NEXT) | instid1(VALU_DEP_2)
	v_cvt_f64_f32_e32 v[0:1], v8
	v_cvt_f64_f32_e32 v[6:7], v6
	s_delay_alu instid0(VALU_DEP_2) | instskip(NEXT) | instid1(VALU_DEP_2)
	v_mul_f64_e32 v[0:1], s[0:1], v[0:1]
	v_mul_f64_e32 v[6:7], s[0:1], v[6:7]
	s_delay_alu instid0(VALU_DEP_2) | instskip(NEXT) | instid1(VALU_DEP_2)
	v_cvt_f32_f64_e32 v0, v[0:1]
	v_cvt_f32_f64_e32 v1, v[6:7]
	global_store_b64 v[4:5], v[0:1], off
	global_load_b64 v[0:1], v106, s[12:13] offset:8064
	v_add_co_u32 v4, vcc_lo, v4, s2
	s_wait_alu 0xfffd
	v_add_co_ci_u32_e32 v5, vcc_lo, s3, v5, vcc_lo
	s_wait_loadcnt 0x0
	v_mul_f32_e32 v6, v3, v1
	v_mul_f32_e32 v1, v2, v1
	s_delay_alu instid0(VALU_DEP_2) | instskip(NEXT) | instid1(VALU_DEP_2)
	v_fmac_f32_e32 v6, v2, v0
	v_fma_f32 v2, v0, v3, -v1
	s_delay_alu instid0(VALU_DEP_2) | instskip(NEXT) | instid1(VALU_DEP_2)
	v_cvt_f64_f32_e32 v[0:1], v6
	v_cvt_f64_f32_e32 v[2:3], v2
	s_delay_alu instid0(VALU_DEP_2) | instskip(NEXT) | instid1(VALU_DEP_2)
	v_mul_f64_e32 v[0:1], s[0:1], v[0:1]
	v_mul_f64_e32 v[2:3], s[0:1], v[2:3]
	s_delay_alu instid0(VALU_DEP_2) | instskip(NEXT) | instid1(VALU_DEP_2)
	v_cvt_f32_f64_e32 v0, v[0:1]
	v_cvt_f32_f64_e32 v1, v[2:3]
	global_store_b64 v[4:5], v[0:1], off
	global_load_b64 v[6:7], v106, s[12:13] offset:8640
	v_add_nc_u32_e32 v0, 0x2000, v110
	v_add_co_u32 v4, vcc_lo, v4, s2
	s_wait_alu 0xfffd
	v_add_co_ci_u32_e32 v5, vcc_lo, s3, v5, vcc_lo
	ds_load_2addr_b64 v[0:3], v0 offset0:56 offset1:128
	s_wait_loadcnt_dscnt 0x0
	v_mul_f32_e32 v8, v1, v7
	v_mul_f32_e32 v7, v0, v7
	s_delay_alu instid0(VALU_DEP_2) | instskip(NEXT) | instid1(VALU_DEP_2)
	v_fmac_f32_e32 v8, v0, v6
	v_fma_f32 v6, v6, v1, -v7
	s_delay_alu instid0(VALU_DEP_2) | instskip(NEXT) | instid1(VALU_DEP_2)
	v_cvt_f64_f32_e32 v[0:1], v8
	v_cvt_f64_f32_e32 v[6:7], v6
	s_delay_alu instid0(VALU_DEP_2) | instskip(NEXT) | instid1(VALU_DEP_2)
	v_mul_f64_e32 v[0:1], s[0:1], v[0:1]
	v_mul_f64_e32 v[6:7], s[0:1], v[6:7]
	s_delay_alu instid0(VALU_DEP_2) | instskip(NEXT) | instid1(VALU_DEP_2)
	v_cvt_f32_f64_e32 v0, v[0:1]
	v_cvt_f32_f64_e32 v1, v[6:7]
	global_store_b64 v[4:5], v[0:1], off
	global_load_b64 v[0:1], v106, s[12:13] offset:9216
	s_wait_loadcnt 0x0
	v_mul_f32_e32 v4, v3, v1
	v_mul_f32_e32 v1, v2, v1
	s_delay_alu instid0(VALU_DEP_2) | instskip(NEXT) | instid1(VALU_DEP_2)
	v_fmac_f32_e32 v4, v2, v0
	v_fma_f32 v2, v0, v3, -v1
	s_delay_alu instid0(VALU_DEP_2) | instskip(NEXT) | instid1(VALU_DEP_2)
	v_cvt_f64_f32_e32 v[0:1], v4
	v_cvt_f64_f32_e32 v[2:3], v2
	v_mad_co_u64_u32 v[4:5], null, s4, v105, 0
	s_delay_alu instid0(VALU_DEP_3) | instskip(NEXT) | instid1(VALU_DEP_3)
	v_mul_f64_e32 v[0:1], s[0:1], v[0:1]
	v_mul_f64_e32 v[2:3], s[0:1], v[2:3]
	s_delay_alu instid0(VALU_DEP_2) | instskip(NEXT) | instid1(VALU_DEP_2)
	v_cvt_f32_f64_e32 v0, v[0:1]
	v_cvt_f32_f64_e32 v1, v[2:3]
	v_mov_b32_e32 v2, v5
	s_delay_alu instid0(VALU_DEP_1) | instskip(NEXT) | instid1(VALU_DEP_1)
	v_mad_co_u64_u32 v[2:3], null, s5, v105, v[2:3]
	v_mov_b32_e32 v5, v2
	s_delay_alu instid0(VALU_DEP_1) | instskip(NEXT) | instid1(VALU_DEP_1)
	v_lshlrev_b64_e32 v[2:3], 3, v[4:5]
	v_add_co_u32 v2, vcc_lo, v10, v2
	s_wait_alu 0xfffd
	s_delay_alu instid0(VALU_DEP_2)
	v_add_co_ci_u32_e32 v3, vcc_lo, v11, v3, vcc_lo
	global_store_b64 v[2:3], v[0:1], off
.LBB0_15:
	s_nop 0
	s_sendmsg sendmsg(MSG_DEALLOC_VGPRS)
	s_endpgm
	.section	.rodata,"a",@progbits
	.p2align	6, 0x0
	.amdhsa_kernel bluestein_single_fwd_len1224_dim1_sp_op_CI_CI
		.amdhsa_group_segment_fixed_size 19584
		.amdhsa_private_segment_fixed_size 0
		.amdhsa_kernarg_size 104
		.amdhsa_user_sgpr_count 2
		.amdhsa_user_sgpr_dispatch_ptr 0
		.amdhsa_user_sgpr_queue_ptr 0
		.amdhsa_user_sgpr_kernarg_segment_ptr 1
		.amdhsa_user_sgpr_dispatch_id 0
		.amdhsa_user_sgpr_private_segment_size 0
		.amdhsa_wavefront_size32 1
		.amdhsa_uses_dynamic_stack 0
		.amdhsa_enable_private_segment 0
		.amdhsa_system_sgpr_workgroup_id_x 1
		.amdhsa_system_sgpr_workgroup_id_y 0
		.amdhsa_system_sgpr_workgroup_id_z 0
		.amdhsa_system_sgpr_workgroup_info 0
		.amdhsa_system_vgpr_workitem_id 0
		.amdhsa_next_free_vgpr 239
		.amdhsa_next_free_sgpr 16
		.amdhsa_reserve_vcc 1
		.amdhsa_float_round_mode_32 0
		.amdhsa_float_round_mode_16_64 0
		.amdhsa_float_denorm_mode_32 3
		.amdhsa_float_denorm_mode_16_64 3
		.amdhsa_fp16_overflow 0
		.amdhsa_workgroup_processor_mode 1
		.amdhsa_memory_ordered 1
		.amdhsa_forward_progress 0
		.amdhsa_round_robin_scheduling 0
		.amdhsa_exception_fp_ieee_invalid_op 0
		.amdhsa_exception_fp_denorm_src 0
		.amdhsa_exception_fp_ieee_div_zero 0
		.amdhsa_exception_fp_ieee_overflow 0
		.amdhsa_exception_fp_ieee_underflow 0
		.amdhsa_exception_fp_ieee_inexact 0
		.amdhsa_exception_int_div_zero 0
	.end_amdhsa_kernel
	.text
.Lfunc_end0:
	.size	bluestein_single_fwd_len1224_dim1_sp_op_CI_CI, .Lfunc_end0-bluestein_single_fwd_len1224_dim1_sp_op_CI_CI
                                        ; -- End function
	.section	.AMDGPU.csdata,"",@progbits
; Kernel info:
; codeLenInByte = 21300
; NumSgprs: 18
; NumVgprs: 239
; ScratchSize: 0
; MemoryBound: 0
; FloatMode: 240
; IeeeMode: 1
; LDSByteSize: 19584 bytes/workgroup (compile time only)
; SGPRBlocks: 2
; VGPRBlocks: 29
; NumSGPRsForWavesPerEU: 18
; NumVGPRsForWavesPerEU: 239
; Occupancy: 6
; WaveLimiterHint : 1
; COMPUTE_PGM_RSRC2:SCRATCH_EN: 0
; COMPUTE_PGM_RSRC2:USER_SGPR: 2
; COMPUTE_PGM_RSRC2:TRAP_HANDLER: 0
; COMPUTE_PGM_RSRC2:TGID_X_EN: 1
; COMPUTE_PGM_RSRC2:TGID_Y_EN: 0
; COMPUTE_PGM_RSRC2:TGID_Z_EN: 0
; COMPUTE_PGM_RSRC2:TIDIG_COMP_CNT: 0
	.text
	.p2alignl 7, 3214868480
	.fill 96, 4, 3214868480
	.type	__hip_cuid_39941d6960efce14,@object ; @__hip_cuid_39941d6960efce14
	.section	.bss,"aw",@nobits
	.globl	__hip_cuid_39941d6960efce14
__hip_cuid_39941d6960efce14:
	.byte	0                               ; 0x0
	.size	__hip_cuid_39941d6960efce14, 1

	.ident	"AMD clang version 19.0.0git (https://github.com/RadeonOpenCompute/llvm-project roc-6.4.0 25133 c7fe45cf4b819c5991fe208aaa96edf142730f1d)"
	.section	".note.GNU-stack","",@progbits
	.addrsig
	.addrsig_sym __hip_cuid_39941d6960efce14
	.amdgpu_metadata
---
amdhsa.kernels:
  - .args:
      - .actual_access:  read_only
        .address_space:  global
        .offset:         0
        .size:           8
        .value_kind:     global_buffer
      - .actual_access:  read_only
        .address_space:  global
        .offset:         8
        .size:           8
        .value_kind:     global_buffer
      - .actual_access:  read_only
        .address_space:  global
        .offset:         16
        .size:           8
        .value_kind:     global_buffer
      - .actual_access:  read_only
        .address_space:  global
        .offset:         24
        .size:           8
        .value_kind:     global_buffer
      - .actual_access:  read_only
        .address_space:  global
        .offset:         32
        .size:           8
        .value_kind:     global_buffer
      - .offset:         40
        .size:           8
        .value_kind:     by_value
      - .address_space:  global
        .offset:         48
        .size:           8
        .value_kind:     global_buffer
      - .address_space:  global
        .offset:         56
        .size:           8
        .value_kind:     global_buffer
      - .address_space:  global
        .offset:         64
        .size:           8
        .value_kind:     global_buffer
      - .address_space:  global
        .offset:         72
        .size:           8
        .value_kind:     global_buffer
      - .offset:         80
        .size:           4
        .value_kind:     by_value
      - .address_space:  global
        .offset:         88
        .size:           8
        .value_kind:     global_buffer
      - .address_space:  global
        .offset:         96
        .size:           8
        .value_kind:     global_buffer
    .group_segment_fixed_size: 19584
    .kernarg_segment_align: 8
    .kernarg_segment_size: 104
    .language:       OpenCL C
    .language_version:
      - 2
      - 0
    .max_flat_workgroup_size: 204
    .name:           bluestein_single_fwd_len1224_dim1_sp_op_CI_CI
    .private_segment_fixed_size: 0
    .sgpr_count:     18
    .sgpr_spill_count: 0
    .symbol:         bluestein_single_fwd_len1224_dim1_sp_op_CI_CI.kd
    .uniform_work_group_size: 1
    .uses_dynamic_stack: false
    .vgpr_count:     239
    .vgpr_spill_count: 0
    .wavefront_size: 32
    .workgroup_processor_mode: 1
amdhsa.target:   amdgcn-amd-amdhsa--gfx1201
amdhsa.version:
  - 1
  - 2
...

	.end_amdgpu_metadata
